;; amdgpu-corpus repo=ROCm/rocFFT kind=compiled arch=gfx950 opt=O3
	.text
	.amdgcn_target "amdgcn-amd-amdhsa--gfx950"
	.amdhsa_code_object_version 6
	.protected	fft_rtc_back_len224_factors_7_2_2_2_2_2_wgs_64_tpt_16_halfLds_dp_op_CI_CI_sbrr_dirReg ; -- Begin function fft_rtc_back_len224_factors_7_2_2_2_2_2_wgs_64_tpt_16_halfLds_dp_op_CI_CI_sbrr_dirReg
	.globl	fft_rtc_back_len224_factors_7_2_2_2_2_2_wgs_64_tpt_16_halfLds_dp_op_CI_CI_sbrr_dirReg
	.p2align	8
	.type	fft_rtc_back_len224_factors_7_2_2_2_2_2_wgs_64_tpt_16_halfLds_dp_op_CI_CI_sbrr_dirReg,@function
fft_rtc_back_len224_factors_7_2_2_2_2_2_wgs_64_tpt_16_halfLds_dp_op_CI_CI_sbrr_dirReg: ; @fft_rtc_back_len224_factors_7_2_2_2_2_2_wgs_64_tpt_16_halfLds_dp_op_CI_CI_sbrr_dirReg
; %bb.0:
	s_load_dwordx4 s[12:15], s[0:1], 0x18
	s_load_dwordx4 s[8:11], s[0:1], 0x0
	;; [unrolled: 1-line block ×3, first 2 shown]
	v_lshrrev_b32_e32 v63, 4, v0
	v_lshl_or_b32 v6, s2, 2, v63
	s_waitcnt lgkmcnt(0)
	s_load_dwordx2 s[18:19], s[12:13], 0x0
	s_load_dwordx2 s[16:17], s[14:15], 0x0
	v_mov_b32_e32 v2, 0
	v_cmp_lt_u64_e64 s[2:3], s[10:11], 2
	v_mov_b32_e32 v7, v2
	s_and_b64 vcc, exec, s[2:3]
	v_mov_b64_e32 v[4:5], 0
	s_cbranch_vccnz .LBB0_8
; %bb.1:
	s_load_dwordx2 s[2:3], s[0:1], 0x10
	s_add_u32 s20, s14, 8
	s_addc_u32 s21, s15, 0
	s_add_u32 s22, s12, 8
	s_addc_u32 s23, s13, 0
	s_waitcnt lgkmcnt(0)
	s_add_u32 s24, s2, 8
	v_mov_b64_e32 v[4:5], 0
	s_addc_u32 s25, s3, 0
	s_mov_b64 s[26:27], 1
	v_mov_b64_e32 v[56:57], v[4:5]
.LBB0_2:                                ; =>This Inner Loop Header: Depth=1
	s_load_dwordx2 s[28:29], s[24:25], 0x0
                                        ; implicit-def: $vgpr60_vgpr61
	s_waitcnt lgkmcnt(0)
	v_or_b32_e32 v3, s29, v7
	v_cmp_ne_u64_e32 vcc, 0, v[2:3]
	s_and_saveexec_b64 s[2:3], vcc
	s_xor_b64 s[30:31], exec, s[2:3]
	s_cbranch_execz .LBB0_4
; %bb.3:                                ;   in Loop: Header=BB0_2 Depth=1
	v_cvt_f32_u32_e32 v1, s28
	v_cvt_f32_u32_e32 v3, s29
	s_sub_u32 s2, 0, s28
	s_subb_u32 s3, 0, s29
	v_fmac_f32_e32 v1, 0x4f800000, v3
	v_rcp_f32_e32 v1, v1
	s_nop 0
	v_mul_f32_e32 v1, 0x5f7ffffc, v1
	v_mul_f32_e32 v3, 0x2f800000, v1
	v_trunc_f32_e32 v3, v3
	v_fmac_f32_e32 v1, 0xcf800000, v3
	v_cvt_u32_f32_e32 v3, v3
	v_cvt_u32_f32_e32 v1, v1
	v_mul_lo_u32 v8, s2, v3
	v_mul_hi_u32 v10, s2, v1
	v_mul_lo_u32 v9, s3, v1
	v_add_u32_e32 v10, v10, v8
	v_mul_lo_u32 v12, s2, v1
	v_add_u32_e32 v13, v10, v9
	v_mul_hi_u32 v8, v1, v12
	v_mul_hi_u32 v11, v1, v13
	v_mul_lo_u32 v10, v1, v13
	v_mov_b32_e32 v9, v2
	v_lshl_add_u64 v[8:9], v[8:9], 0, v[10:11]
	v_mul_hi_u32 v11, v3, v12
	v_mul_lo_u32 v12, v3, v12
	v_add_co_u32_e32 v8, vcc, v8, v12
	v_mul_hi_u32 v10, v3, v13
	s_nop 0
	v_addc_co_u32_e32 v8, vcc, v9, v11, vcc
	v_mov_b32_e32 v9, v2
	s_nop 0
	v_addc_co_u32_e32 v11, vcc, 0, v10, vcc
	v_mul_lo_u32 v10, v3, v13
	v_lshl_add_u64 v[8:9], v[8:9], 0, v[10:11]
	v_add_co_u32_e32 v1, vcc, v1, v8
	v_mul_lo_u32 v10, s2, v1
	s_nop 0
	v_addc_co_u32_e32 v3, vcc, v3, v9, vcc
	v_mul_lo_u32 v8, s2, v3
	v_mul_hi_u32 v9, s2, v1
	v_add_u32_e32 v8, v9, v8
	v_mul_lo_u32 v9, s3, v1
	v_add_u32_e32 v12, v8, v9
	v_mul_hi_u32 v14, v3, v10
	v_mul_lo_u32 v15, v3, v10
	v_mul_hi_u32 v9, v1, v12
	v_mul_lo_u32 v8, v1, v12
	v_mul_hi_u32 v10, v1, v10
	v_mov_b32_e32 v11, v2
	v_lshl_add_u64 v[8:9], v[10:11], 0, v[8:9]
	v_add_co_u32_e32 v8, vcc, v8, v15
	v_mul_hi_u32 v13, v3, v12
	s_nop 0
	v_addc_co_u32_e32 v8, vcc, v9, v14, vcc
	v_mul_lo_u32 v10, v3, v12
	s_nop 0
	v_addc_co_u32_e32 v11, vcc, 0, v13, vcc
	v_mov_b32_e32 v9, v2
	v_lshl_add_u64 v[8:9], v[8:9], 0, v[10:11]
	v_add_co_u32_e32 v1, vcc, v1, v8
	v_mul_hi_u32 v10, v6, v1
	s_nop 0
	v_addc_co_u32_e32 v3, vcc, v3, v9, vcc
	v_mad_u64_u32 v[8:9], s[2:3], v6, v3, 0
	v_mov_b32_e32 v11, v2
	v_lshl_add_u64 v[8:9], v[10:11], 0, v[8:9]
	v_mad_u64_u32 v[12:13], s[2:3], v7, v1, 0
	v_add_co_u32_e32 v1, vcc, v8, v12
	v_mad_u64_u32 v[10:11], s[2:3], v7, v3, 0
	s_nop 0
	v_addc_co_u32_e32 v8, vcc, v9, v13, vcc
	v_mov_b32_e32 v9, v2
	s_nop 0
	v_addc_co_u32_e32 v11, vcc, 0, v11, vcc
	v_lshl_add_u64 v[8:9], v[8:9], 0, v[10:11]
	v_mul_lo_u32 v1, s29, v8
	v_mul_lo_u32 v3, s28, v9
	v_mad_u64_u32 v[10:11], s[2:3], s28, v8, 0
	v_add3_u32 v1, v11, v3, v1
	v_sub_u32_e32 v3, v7, v1
	v_mov_b32_e32 v11, s29
	v_sub_co_u32_e32 v14, vcc, v6, v10
	v_lshl_add_u64 v[12:13], v[8:9], 0, 1
	s_nop 0
	v_subb_co_u32_e64 v3, s[2:3], v3, v11, vcc
	v_subrev_co_u32_e64 v10, s[2:3], s28, v14
	v_subb_co_u32_e32 v1, vcc, v7, v1, vcc
	s_nop 0
	v_subbrev_co_u32_e64 v3, s[2:3], 0, v3, s[2:3]
	v_cmp_le_u32_e64 s[2:3], s29, v3
	v_cmp_le_u32_e32 vcc, s29, v1
	s_nop 0
	v_cndmask_b32_e64 v11, 0, -1, s[2:3]
	v_cmp_le_u32_e64 s[2:3], s28, v10
	s_nop 1
	v_cndmask_b32_e64 v10, 0, -1, s[2:3]
	v_cmp_eq_u32_e64 s[2:3], s29, v3
	s_nop 1
	v_cndmask_b32_e64 v3, v11, v10, s[2:3]
	v_lshl_add_u64 v[10:11], v[8:9], 0, 2
	v_cmp_ne_u32_e64 s[2:3], 0, v3
	s_nop 1
	v_cndmask_b32_e64 v3, v13, v11, s[2:3]
	v_cndmask_b32_e64 v11, 0, -1, vcc
	v_cmp_le_u32_e32 vcc, s28, v14
	s_nop 1
	v_cndmask_b32_e64 v13, 0, -1, vcc
	v_cmp_eq_u32_e32 vcc, s29, v1
	s_nop 1
	v_cndmask_b32_e32 v1, v11, v13, vcc
	v_cmp_ne_u32_e32 vcc, 0, v1
	v_cndmask_b32_e64 v1, v12, v10, s[2:3]
	s_nop 0
	v_cndmask_b32_e32 v61, v9, v3, vcc
	v_cndmask_b32_e32 v60, v8, v1, vcc
.LBB0_4:                                ;   in Loop: Header=BB0_2 Depth=1
	s_andn2_saveexec_b64 s[2:3], s[30:31]
	s_cbranch_execz .LBB0_6
; %bb.5:                                ;   in Loop: Header=BB0_2 Depth=1
	v_cvt_f32_u32_e32 v1, s28
	s_sub_i32 s30, 0, s28
	v_mov_b32_e32 v61, v2
	v_rcp_iflag_f32_e32 v1, v1
	s_nop 0
	v_mul_f32_e32 v1, 0x4f7ffffe, v1
	v_cvt_u32_f32_e32 v1, v1
	v_mul_lo_u32 v3, s30, v1
	v_mul_hi_u32 v3, v1, v3
	v_add_u32_e32 v1, v1, v3
	v_mul_hi_u32 v1, v6, v1
	v_mul_lo_u32 v3, v1, s28
	v_sub_u32_e32 v3, v6, v3
	v_add_u32_e32 v8, 1, v1
	v_subrev_u32_e32 v9, s28, v3
	v_cmp_le_u32_e32 vcc, s28, v3
	s_nop 1
	v_cndmask_b32_e32 v3, v3, v9, vcc
	v_cndmask_b32_e32 v1, v1, v8, vcc
	v_add_u32_e32 v8, 1, v1
	v_cmp_le_u32_e32 vcc, s28, v3
	s_nop 1
	v_cndmask_b32_e32 v60, v1, v8, vcc
.LBB0_6:                                ;   in Loop: Header=BB0_2 Depth=1
	s_or_b64 exec, exec, s[2:3]
	v_mad_u64_u32 v[8:9], s[2:3], v60, s28, 0
	s_load_dwordx2 s[2:3], s[22:23], 0x0
	v_mul_lo_u32 v1, v61, s28
	v_mul_lo_u32 v3, v60, s29
	s_load_dwordx2 s[28:29], s[20:21], 0x0
	s_add_u32 s26, s26, 1
	v_add3_u32 v1, v9, v3, v1
	v_sub_co_u32_e32 v3, vcc, v6, v8
	s_addc_u32 s27, s27, 0
	s_nop 0
	v_subb_co_u32_e32 v1, vcc, v7, v1, vcc
	s_add_u32 s20, s20, 8
	s_waitcnt lgkmcnt(0)
	v_mul_lo_u32 v6, s2, v1
	v_mul_lo_u32 v7, s3, v3
	v_mad_u64_u32 v[4:5], s[2:3], s2, v3, v[4:5]
	s_addc_u32 s21, s21, 0
	v_add3_u32 v5, v7, v5, v6
	v_mul_lo_u32 v1, s28, v1
	v_mul_lo_u32 v6, s29, v3
	v_mad_u64_u32 v[56:57], s[2:3], s28, v3, v[56:57]
	s_add_u32 s22, s22, 8
	v_add3_u32 v57, v6, v57, v1
	s_addc_u32 s23, s23, 0
	v_mov_b64_e32 v[6:7], s[10:11]
	s_add_u32 s24, s24, 8
	v_cmp_ge_u64_e32 vcc, s[26:27], v[6:7]
	s_addc_u32 s25, s25, 0
	s_cbranch_vccnz .LBB0_9
; %bb.7:                                ;   in Loop: Header=BB0_2 Depth=1
	v_mov_b64_e32 v[6:7], v[60:61]
	s_branch .LBB0_2
.LBB0_8:
	v_mov_b64_e32 v[56:57], v[4:5]
	v_mov_b64_e32 v[60:61], v[6:7]
.LBB0_9:
	s_load_dwordx2 s[0:1], s[0:1], 0x28
	s_lshl_b64 s[10:11], s[10:11], 3
	s_add_u32 s2, s14, s10
	s_addc_u32 s3, s15, s11
	v_and_b32_e32 v58, 15, v0
	s_waitcnt lgkmcnt(0)
	v_cmp_gt_u64_e32 vcc, s[0:1], v[60:61]
	v_cmp_le_u64_e64 s[0:1], s[0:1], v[60:61]
                                        ; implicit-def: $vgpr72
                                        ; implicit-def: $vgpr70
                                        ; implicit-def: $vgpr66
                                        ; implicit-def: $vgpr62
                                        ; implicit-def: $vgpr68
                                        ; implicit-def: $vgpr64
	s_and_saveexec_b64 s[14:15], s[0:1]
	s_xor_b64 s[0:1], exec, s[14:15]
; %bb.10:
	v_and_b32_e32 v58, 15, v0
	v_mov_b32_e32 v59, 0
	v_or_b32_e32 v72, 16, v58
	v_or_b32_e32 v70, 32, v58
	v_or_b32_e32 v66, 48, v58
	v_or_b32_e32 v62, 64, v58
	v_or_b32_e32 v68, 0x50, v58
	v_or_b32_e32 v64, 0x60, v58
	v_mov_b32_e32 v73, v59
	v_mov_b32_e32 v71, v59
                                        ; implicit-def: $vgpr4_vgpr5
; %bb.11:
	s_or_saveexec_b64 s[0:1], s[0:1]
                                        ; implicit-def: $vgpr42_vgpr43
                                        ; implicit-def: $vgpr34_vgpr35
                                        ; implicit-def: $vgpr26_vgpr27
                                        ; implicit-def: $vgpr22_vgpr23
                                        ; implicit-def: $vgpr30_vgpr31
                                        ; implicit-def: $vgpr38_vgpr39
                                        ; implicit-def: $vgpr6_vgpr7
                                        ; implicit-def: $vgpr54_vgpr55
                                        ; implicit-def: $vgpr50_vgpr51
                                        ; implicit-def: $vgpr46_vgpr47
                                        ; implicit-def: $vgpr14_vgpr15
                                        ; implicit-def: $vgpr18_vgpr19
                                        ; implicit-def: $vgpr10_vgpr11
                                        ; implicit-def: $vgpr2_vgpr3
	s_xor_b64 exec, exec, s[0:1]
	s_cbranch_execz .LBB0_13
; %bb.12:
	s_add_u32 s10, s12, s10
	s_addc_u32 s11, s13, s11
	s_load_dwordx2 s[10:11], s[10:11], 0x0
	v_or_b32_e32 v70, 32, v58
	v_or_b32_e32 v62, 64, v58
	;; [unrolled: 1-line block ×4, first 2 shown]
	s_waitcnt lgkmcnt(0)
	v_mul_lo_u32 v2, s11, v60
	v_mul_lo_u32 v3, s10, v61
	v_mad_u64_u32 v[0:1], s[10:11], s10, v60, 0
	v_add3_u32 v1, v1, v3, v2
	v_mad_u64_u32 v[2:3], s[10:11], s18, v58, 0
	v_mov_b32_e32 v6, v3
	v_mad_u64_u32 v[6:7], s[10:11], s19, v58, v[6:7]
	v_lshl_add_u64 v[0:1], v[0:1], 4, s[4:5]
	v_mov_b32_e32 v3, v6
	v_lshl_add_u64 v[4:5], v[4:5], 4, v[0:1]
	v_mad_u64_u32 v[0:1], s[4:5], s18, v70, 0
	v_lshl_add_u64 v[6:7], v[2:3], 4, v[4:5]
	v_mov_b32_e32 v2, v1
	v_mad_u64_u32 v[2:3], s[4:5], s19, v70, v[2:3]
	v_mov_b32_e32 v1, v2
	v_lshl_add_u64 v[12:13], v[0:1], 4, v[4:5]
	global_load_dwordx4 v[0:3], v[6:7], off
	global_load_dwordx4 v[8:11], v[12:13], off
	v_mad_u64_u32 v[6:7], s[4:5], s18, v62, 0
	v_mov_b32_e32 v12, v7
	v_mad_u64_u32 v[12:13], s[4:5], s19, v62, v[12:13]
	v_mov_b32_e32 v7, v12
	;; [unrolled: 2-line block ×4, first 2 shown]
	v_lshl_add_u64 v[6:7], v[6:7], 4, v[4:5]
	v_lshl_add_u64 v[20:21], v[12:13], 4, v[4:5]
	global_load_dwordx4 v[16:19], v[6:7], off
	global_load_dwordx4 v[12:15], v[20:21], off
	v_or_b32_e32 v21, 0x80, v58
	v_mad_u64_u32 v[6:7], s[4:5], s18, v21, 0
	v_mov_b32_e32 v20, v7
	v_mad_u64_u32 v[20:21], s[4:5], s19, v21, v[20:21]
	v_mov_b32_e32 v7, v20
	;; [unrolled: 2-line block ×3, first 2 shown]
	v_mad_u64_u32 v[22:23], s[4:5], s19, v23, v[22:23]
	v_or_b32_e32 v25, 0xc0, v58
	v_mov_b32_e32 v21, v22
	v_mad_u64_u32 v[22:23], s[4:5], s18, v25, 0
	v_mov_b32_e32 v24, v23
	v_mad_u64_u32 v[24:25], s[4:5], s19, v25, v[24:25]
	v_or_b32_e32 v72, 16, v58
	v_mov_b32_e32 v23, v24
	v_mad_u64_u32 v[24:25], s[4:5], s18, v72, 0
	v_mov_b32_e32 v26, v25
	;; [unrolled: 5-line block ×8, first 2 shown]
	v_mad_u64_u32 v[38:39], s[4:5], s19, v39, v[38:39]
	v_lshl_add_u64 v[6:7], v[6:7], 4, v[4:5]
	v_lshl_add_u64 v[20:21], v[20:21], 4, v[4:5]
	;; [unrolled: 1-line block ×3, first 2 shown]
	v_mov_b32_e32 v37, v38
	global_load_dwordx4 v[44:47], v[6:7], off
	global_load_dwordx4 v[48:51], v[20:21], off
	v_lshl_add_u64 v[76:77], v[24:25], 4, v[4:5]
	v_lshl_add_u64 v[78:79], v[26:27], 4, v[4:5]
	v_lshl_add_u64 v[80:81], v[28:29], 4, v[4:5]
	v_lshl_add_u64 v[82:83], v[30:31], 4, v[4:5]
	v_lshl_add_u64 v[84:85], v[32:33], 4, v[4:5]
	v_lshl_add_u64 v[86:87], v[34:35], 4, v[4:5]
	v_lshl_add_u64 v[88:89], v[36:37], 4, v[4:5]
	global_load_dwordx4 v[52:55], v[74:75], off
	global_load_dwordx4 v[4:7], v[76:77], off
	;; [unrolled: 1-line block ×8, first 2 shown]
	v_mov_b32_e32 v59, 0
	v_mov_b32_e32 v71, v59
	;; [unrolled: 1-line block ×3, first 2 shown]
.LBB0_13:
	s_or_b64 exec, exec, s[0:1]
	s_waitcnt vmcnt(7)
	v_add_f64 v[76:77], v[52:53], v[8:9]
	v_add_f64 v[78:79], v[48:49], v[16:17]
	;; [unrolled: 1-line block ×3, first 2 shown]
	v_add_f64 v[54:55], v[10:11], -v[54:55]
	v_add_f64 v[10:11], v[16:17], -v[48:49]
	v_add_f64 v[48:49], v[44:45], v[12:13]
	v_add_f64 v[16:17], v[46:47], v[14:15]
	v_add_f64 v[12:13], v[44:45], -v[12:13]
	v_add_f64 v[14:15], v[46:47], -v[14:15]
	s_waitcnt vmcnt(0)
	v_add_f64 v[46:47], v[40:41], v[36:37]
	v_add_f64 v[44:45], v[42:43], v[38:39]
	v_add_f64 v[36:37], v[36:37], -v[40:41]
	v_add_f64 v[40:41], v[38:39], -v[42:43]
	v_add_f64 v[42:43], v[32:33], v[28:29]
	v_add_f64 v[38:39], v[34:35], v[30:31]
	v_add_f64 v[32:33], v[28:29], -v[32:33]
	v_add_f64 v[28:29], v[30:31], -v[34:35]
	;; [unrolled: 4-line block ×3, first 2 shown]
	v_add_f64 v[22:23], v[78:79], v[76:77]
	v_add_f64 v[8:9], v[8:9], -v[52:53]
	v_add_f64 v[52:53], v[50:51], v[18:19]
	v_add_f64 v[18:19], v[18:19], -v[50:51]
	v_add_f64 v[22:23], v[48:49], v[22:23]
	v_add_f64 v[24:25], v[78:79], -v[76:77]
	v_add_f64 v[26:27], v[76:77], -v[48:49]
	v_add_f64 v[76:77], v[48:49], -v[78:79]
	v_add_f64 v[48:49], v[14:15], v[18:19]
	s_mov_b32 s0, 0xaaaaaaaa
	v_add_f64 v[0:1], v[0:1], v[22:23]
	s_mov_b32 s14, 0x37e14327
	s_mov_b32 s10, 0xe976ee23
	v_add_f64 v[50:51], v[14:15], -v[18:19]
	v_add_f64 v[14:15], v[54:55], -v[14:15]
	;; [unrolled: 1-line block ×3, first 2 shown]
	v_add_f64 v[48:49], v[48:49], v[54:55]
	s_mov_b32 s1, 0xbff2aaaa
	v_mov_b64_e32 v[54:55], v[0:1]
	s_mov_b32 s15, 0x3fe948f6
	s_mov_b32 s4, 0x36b3c0b5
	;; [unrolled: 1-line block ×6, first 2 shown]
	v_fmac_f64_e32 v[54:55], s[0:1], v[22:23]
	v_mul_u32_u24_e32 v63, 0xe0, v63
	v_mul_f64 v[22:23], v[26:27], s[14:15]
	s_mov_b32 s5, 0x3fac98ee
	v_mul_f64 v[26:27], v[50:51], s[10:11]
	s_mov_b32 s13, 0xbfebfeb5
	s_mov_b32 s23, 0x3fe77f67
	;; [unrolled: 1-line block ×6, first 2 shown]
	v_fma_f64 v[78:79], v[24:25], s[24:25], -v[22:23]
	v_fmac_f64_e32 v[22:23], s[4:5], v[76:77]
	v_fma_f64 v[82:83], v[18:19], s[12:13], -v[26:27]
	v_fmac_f64_e32 v[26:27], s[20:21], v[14:15]
	s_mov_b32 s19, 0xbfdc38aa
	v_lshlrev_b32_e32 v50, 3, v63
	v_add_f64 v[22:23], v[22:23], v[54:55]
	v_fmac_f64_e32 v[26:27], s[18:19], v[48:49]
	v_add_u32_e32 v51, 0, v50
	v_mad_u32_u24 v63, v58, 56, v51
	v_add_f64 v[84:85], v[26:27], v[22:23]
	ds_write2_b64 v63, v[0:1], v[84:85] offset1:1
	v_add_f64 v[0:1], v[52:53], v[74:75]
	v_add_f64 v[0:1], v[16:17], v[0:1]
	;; [unrolled: 1-line block ×3, first 2 shown]
	v_mov_b64_e32 v[96:97], v[94:95]
	v_fmac_f64_e32 v[96:97], s[0:1], v[0:1]
	v_mul_f64 v[0:1], v[76:77], s[4:5]
	v_mul_f64 v[2:3], v[18:19], s[12:13]
	s_mov_b32 s27, 0x3fd5d0dc
	s_mov_b32 s26, s20
	v_add_f64 v[84:85], v[52:53], -v[74:75]
	v_add_f64 v[74:75], v[74:75], -v[16:17]
	;; [unrolled: 1-line block ×3, first 2 shown]
	v_add_f64 v[16:17], v[12:13], v[10:11]
	v_fma_f64 v[0:1], v[24:25], s[22:23], -v[0:1]
	v_fma_f64 v[2:3], v[14:15], s[26:27], -v[2:3]
	v_add_f64 v[14:15], v[42:43], v[46:47]
	v_add_f64 v[88:89], v[8:9], -v[12:13]
	v_add_f64 v[90:91], v[10:11], -v[8:9]
	v_add_f64 v[92:93], v[16:17], v[8:9]
	v_add_f64 v[0:1], v[0:1], v[54:55]
	;; [unrolled: 1-line block ×3, first 2 shown]
	v_fmac_f64_e32 v[82:83], s[18:19], v[48:49]
	v_fmac_f64_e32 v[2:3], s[18:19], v[48:49]
	v_add_f64 v[14:15], v[80:81], v[14:15]
	v_add_f64 v[52:53], v[12:13], -v[10:11]
	v_add_f64 v[10:11], v[0:1], -v[82:83]
	v_add_f64 v[12:13], v[2:3], v[8:9]
	v_add_f64 v[4:5], v[4:5], v[14:15]
	v_add_f64 v[2:3], v[8:9], -v[2:3]
	v_add_f64 v[8:9], v[22:23], -v[26:27]
	ds_write2_b64 v63, v[12:13], v[10:11] offset0:2 offset1:3
	v_add_f64 v[12:13], v[46:47], -v[80:81]
	v_add_f64 v[16:17], v[80:81], -v[42:43]
	v_mov_b64_e32 v[26:27], v[4:5]
	v_add_f64 v[10:11], v[42:43], -v[46:47]
	v_add_f64 v[22:23], v[20:21], -v[28:29]
	v_add_f64 v[24:25], v[28:29], -v[40:41]
	v_fmac_f64_e32 v[26:27], s[0:1], v[14:15]
	v_mul_f64 v[12:13], v[12:13], s[14:15]
	v_mul_f64 v[14:15], v[16:17], s[4:5]
	v_add_f64 v[18:19], v[20:21], v[28:29]
	v_add_f64 v[20:21], v[40:41], -v[20:21]
	v_fma_f64 v[16:17], s[4:5], v[16:17], v[12:13]
	v_fma_f64 v[14:15], v[10:11], s[22:23], -v[14:15]
	v_fma_f64 v[10:11], v[10:11], s[24:25], -v[12:13]
	v_mul_f64 v[12:13], v[22:23], s[10:11]
	v_mul_f64 v[22:23], v[24:25], s[12:13]
	v_fma_f64 v[24:25], v[24:25], s[12:13], -v[12:13]
	v_fmac_f64_e32 v[12:13], s[20:21], v[20:21]
	v_fma_f64 v[20:21], v[20:21], s[26:27], -v[22:23]
	v_mul_f64 v[22:23], v[74:75], s[14:15]
	v_mul_f64 v[54:55], v[52:53], s[10:11]
	v_add_f64 v[18:19], v[18:19], v[40:41]
	v_fma_f64 v[74:75], v[84:85], s[24:25], -v[22:23]
	v_fmac_f64_e32 v[22:23], s[4:5], v[86:87]
	v_fma_f64 v[76:77], v[90:91], s[12:13], -v[54:55]
	v_fmac_f64_e32 v[54:55], s[20:21], v[88:89]
	v_add_f64 v[16:17], v[16:17], v[26:27]
	v_add_f64 v[14:15], v[14:15], v[26:27]
	;; [unrolled: 1-line block ×3, first 2 shown]
	v_fmac_f64_e32 v[12:13], s[18:19], v[18:19]
	v_fmac_f64_e32 v[24:25], s[18:19], v[18:19]
	;; [unrolled: 1-line block ×3, first 2 shown]
	v_add_f64 v[78:79], v[22:23], v[96:97]
	v_fmac_f64_e32 v[54:55], s[18:19], v[92:93]
	v_lshlrev_b32_e32 v52, 3, v58
	v_add_f64 v[0:1], v[82:83], v[0:1]
	v_add_f64 v[18:19], v[14:15], -v[24:25]
	v_add_f64 v[14:15], v[24:25], v[14:15]
	v_add_f64 v[24:25], v[20:21], v[10:11]
	v_add_f64 v[10:11], v[10:11], -v[20:21]
	v_add_f64 v[20:21], v[12:13], v[16:17]
	v_add_f64 v[12:13], v[16:17], -v[12:13]
	v_mad_i32_i24 v53, v72, 56, v51
	v_add_u32_e32 v40, v51, v52
	s_movk_i32 s28, 0xffd0
	v_lshl_add_u32 v46, v66, 3, v51
	v_add_f64 v[80:81], v[78:79], -v[54:55]
	s_load_dwordx2 s[2:3], s[2:3], 0x0
	ds_write2_b64 v63, v[0:1], v[2:3] offset0:4 offset1:5
	ds_write_b64 v63, v[8:9] offset:48
	ds_write2_b64 v53, v[4:5], v[20:21] offset1:1
	ds_write2_b64 v53, v[24:25], v[18:19] offset0:2 offset1:3
	ds_write2_b64 v53, v[14:15], v[10:11] offset0:4 offset1:5
	ds_write_b64 v53, v[12:13] offset:48
	s_waitcnt lgkmcnt(0)
	; wave barrier
	s_waitcnt lgkmcnt(0)
	ds_read_b64 v[22:23], v40
	v_mad_i32_i24 v41, v58, s28, v63
	v_mad_i32_i24 v42, v72, s28, v53
	v_lshl_add_u32 v43, v70, 3, v51
	v_lshl_add_u32 v47, v62, 3, v51
	v_lshl_add_u32 v48, v68, 3, v51
	v_lshl_add_u32 v49, v64, 3, v51
	ds_read_b64 v[20:21], v46
	ds_read_b64 v[18:19], v47
	;; [unrolled: 1-line block ×6, first 2 shown]
	ds_read_b64 v[28:29], v41 offset:1664
	ds_read2_b64 v[12:15], v41 offset0:112 offset1:128
	ds_read2_b64 v[8:11], v41 offset0:144 offset1:160
	;; [unrolled: 1-line block ×3, first 2 shown]
	s_waitcnt lgkmcnt(0)
	; wave barrier
	s_waitcnt lgkmcnt(0)
	ds_write2_b64 v63, v[94:95], v[80:81] offset1:1
	v_mul_f64 v[80:81], v[86:87], s[4:5]
	v_fma_f64 v[80:81], v[84:85], s[22:23], -v[80:81]
	v_mul_f64 v[82:83], v[90:91], s[12:13]
	v_add_f64 v[80:81], v[80:81], v[96:97]
	v_fmac_f64_e32 v[76:77], s[18:19], v[92:93]
	v_add_f64 v[54:55], v[54:55], v[78:79]
	v_add_f64 v[78:79], v[38:39], v[44:45]
	v_fma_f64 v[82:83], v[88:89], s[26:27], -v[82:83]
	v_add_f64 v[86:87], v[76:77], v[80:81]
	v_add_f64 v[76:77], v[80:81], -v[76:77]
	v_add_f64 v[80:81], v[38:39], -v[44:45]
	;; [unrolled: 1-line block ×4, first 2 shown]
	v_add_f64 v[34:35], v[34:35], v[78:79]
	v_add_f64 v[74:75], v[74:75], v[96:97]
	v_fmac_f64_e32 v[82:83], s[18:19], v[92:93]
	v_add_f64 v[78:79], v[30:31], v[32:33]
	v_add_f64 v[6:7], v[6:7], v[34:35]
	v_add_f64 v[84:85], v[74:75], -v[82:83]
	v_add_f64 v[74:75], v[82:83], v[74:75]
	v_add_f64 v[82:83], v[30:31], -v[32:33]
	v_add_f64 v[30:31], v[36:37], -v[30:31]
	;; [unrolled: 1-line block ×3, first 2 shown]
	v_add_f64 v[36:37], v[78:79], v[36:37]
	v_mov_b64_e32 v[78:79], v[6:7]
	v_fmac_f64_e32 v[78:79], s[0:1], v[34:35]
	v_mul_f64 v[34:35], v[44:45], s[14:15]
	v_mul_f64 v[44:45], v[38:39], s[4:5]
	v_fma_f64 v[44:45], v[80:81], s[22:23], -v[44:45]
	v_fma_f64 v[80:81], v[80:81], s[24:25], -v[34:35]
	v_fmac_f64_e32 v[34:35], s[4:5], v[38:39]
	v_mul_f64 v[38:39], v[82:83], s[10:11]
	v_mul_f64 v[82:83], v[32:33], s[12:13]
	v_fma_f64 v[32:33], v[32:33], s[12:13], -v[38:39]
	v_fma_f64 v[38:39], s[20:21], v[30:31], v[38:39]
	v_fma_f64 v[30:31], v[30:31], s[26:27], -v[82:83]
	v_add_f64 v[34:35], v[34:35], v[78:79]
	v_add_f64 v[44:45], v[44:45], v[78:79]
	;; [unrolled: 1-line block ×3, first 2 shown]
	v_fmac_f64_e32 v[38:39], s[18:19], v[36:37]
	v_fmac_f64_e32 v[32:33], s[18:19], v[36:37]
	;; [unrolled: 1-line block ×3, first 2 shown]
	ds_write2_b64 v63, v[84:85], v[86:87] offset0:2 offset1:3
	v_add_f64 v[36:37], v[32:33], v[44:45]
	v_add_f64 v[32:33], v[44:45], -v[32:33]
	v_add_f64 v[44:45], v[78:79], -v[30:31]
	v_add_f64 v[30:31], v[30:31], v[78:79]
	v_add_f64 v[78:79], v[34:35], -v[38:39]
	v_add_f64 v[34:35], v[38:39], v[34:35]
	ds_write2_b64 v63, v[76:77], v[74:75] offset0:4 offset1:5
	ds_write_b64 v63, v[54:55] offset:48
	ds_write2_b64 v53, v[6:7], v[78:79] offset1:1
	ds_write2_b64 v53, v[44:45], v[36:37] offset0:2 offset1:3
	ds_write2_b64 v53, v[32:33], v[30:31] offset0:4 offset1:5
	ds_write_b64 v53, v[34:35] offset:48
	v_mov_b32_e32 v6, 37
	v_mul_lo_u16_sdwa v7, v58, v6 dst_sel:DWORD dst_unused:UNUSED_PAD src0_sel:BYTE_0 src1_sel:DWORD
	v_sub_u16_sdwa v30, v58, v7 dst_sel:DWORD dst_unused:UNUSED_PAD src0_sel:DWORD src1_sel:BYTE_1
	v_mul_lo_u16_sdwa v32, v72, v6 dst_sel:DWORD dst_unused:UNUSED_PAD src0_sel:BYTE_0 src1_sel:DWORD
	v_lshrrev_b16_e32 v30, 1, v30
	v_sub_u16_sdwa v33, v72, v32 dst_sel:DWORD dst_unused:UNUSED_PAD src0_sel:DWORD src1_sel:BYTE_1
	v_and_b32_e32 v30, 0x7f, v30
	v_lshrrev_b16_e32 v33, 1, v33
	v_add_u16_sdwa v7, v30, v7 dst_sel:DWORD dst_unused:UNUSED_PAD src0_sel:DWORD src1_sel:BYTE_1
	v_and_b32_e32 v33, 0x7f, v33
	v_lshrrev_b16_e32 v31, 2, v7
	v_add_u16_sdwa v32, v33, v32 dst_sel:DWORD dst_unused:UNUSED_PAD src0_sel:DWORD src1_sel:BYTE_1
	v_mul_lo_u16_e32 v7, 7, v31
	v_lshrrev_b16_e32 v63, 2, v32
	v_sub_u16_e32 v53, v58, v7
	v_mov_b32_e32 v30, 4
	v_mul_lo_u16_e32 v32, 7, v63
	v_lshlrev_b32_sdwa v7, v30, v53 dst_sel:DWORD dst_unused:UNUSED_PAD src0_sel:DWORD src1_sel:BYTE_0
	v_sub_u16_e32 v65, v72, v32
	s_waitcnt lgkmcnt(0)
	; wave barrier
	s_waitcnt lgkmcnt(0)
	v_lshlrev_b32_sdwa v44, v30, v65 dst_sel:DWORD dst_unused:UNUSED_PAD src0_sel:DWORD src1_sel:BYTE_0
	global_load_dwordx4 v[32:35], v7, s[8:9]
	global_load_dwordx4 v[36:39], v44, s[8:9]
	v_mul_lo_u16_sdwa v7, v70, v6 dst_sel:DWORD dst_unused:UNUSED_PAD src0_sel:BYTE_0 src1_sel:DWORD
	v_sub_u16_sdwa v44, v70, v7 dst_sel:DWORD dst_unused:UNUSED_PAD src0_sel:DWORD src1_sel:BYTE_1
	v_lshrrev_b16_e32 v44, 1, v44
	v_and_b32_e32 v44, 0x7f, v44
	v_add_u16_sdwa v7, v44, v7 dst_sel:DWORD dst_unused:UNUSED_PAD src0_sel:DWORD src1_sel:BYTE_1
	v_mul_lo_u16_sdwa v44, v66, v6 dst_sel:DWORD dst_unused:UNUSED_PAD src0_sel:BYTE_0 src1_sel:DWORD
	v_sub_u16_sdwa v45, v66, v44 dst_sel:DWORD dst_unused:UNUSED_PAD src0_sel:DWORD src1_sel:BYTE_1
	v_lshrrev_b16_e32 v45, 1, v45
	v_and_b32_e32 v45, 0x7f, v45
	v_lshrrev_b16_e32 v67, 2, v7
	v_add_u16_sdwa v44, v45, v44 dst_sel:DWORD dst_unused:UNUSED_PAD src0_sel:DWORD src1_sel:BYTE_1
	v_mul_lo_u16_e32 v7, 7, v67
	v_lshrrev_b16_e32 v98, 2, v44
	v_sub_u16_e32 v69, v70, v7
	v_mul_lo_u16_e32 v44, 7, v98
	v_lshlrev_b32_sdwa v7, v30, v69 dst_sel:DWORD dst_unused:UNUSED_PAD src0_sel:DWORD src1_sel:BYTE_0
	v_sub_u16_e32 v99, v66, v44
	v_lshlrev_b32_sdwa v44, v30, v99 dst_sel:DWORD dst_unused:UNUSED_PAD src0_sel:DWORD src1_sel:BYTE_0
	global_load_dwordx4 v[74:77], v7, s[8:9]
	global_load_dwordx4 v[78:81], v44, s[8:9]
	v_mul_lo_u16_sdwa v7, v62, v6 dst_sel:DWORD dst_unused:UNUSED_PAD src0_sel:BYTE_0 src1_sel:DWORD
	v_sub_u16_sdwa v44, v62, v7 dst_sel:DWORD dst_unused:UNUSED_PAD src0_sel:DWORD src1_sel:BYTE_1
	v_lshrrev_b16_e32 v44, 1, v44
	v_and_b32_e32 v44, 0x7f, v44
	v_add_u16_sdwa v7, v44, v7 dst_sel:DWORD dst_unused:UNUSED_PAD src0_sel:DWORD src1_sel:BYTE_1
	v_mul_lo_u16_sdwa v44, v68, v6 dst_sel:DWORD dst_unused:UNUSED_PAD src0_sel:BYTE_0 src1_sel:DWORD
	v_sub_u16_sdwa v45, v68, v44 dst_sel:DWORD dst_unused:UNUSED_PAD src0_sel:DWORD src1_sel:BYTE_1
	v_lshrrev_b16_e32 v45, 1, v45
	v_and_b32_e32 v45, 0x7f, v45
	v_lshrrev_b16_e32 v100, 2, v7
	v_add_u16_sdwa v44, v45, v44 dst_sel:DWORD dst_unused:UNUSED_PAD src0_sel:DWORD src1_sel:BYTE_1
	v_mul_lo_u16_e32 v7, 7, v100
	v_lshrrev_b16_e32 v102, 2, v44
	v_sub_u16_e32 v101, v62, v7
	v_mul_lo_u16_e32 v44, 7, v102
	v_lshlrev_b32_sdwa v7, v30, v101 dst_sel:DWORD dst_unused:UNUSED_PAD src0_sel:DWORD src1_sel:BYTE_0
	v_sub_u16_e32 v103, v68, v44
	global_load_dwordx4 v[82:85], v7, s[8:9]
	v_lshlrev_b32_sdwa v7, v30, v103 dst_sel:DWORD dst_unused:UNUSED_PAD src0_sel:DWORD src1_sel:BYTE_0
	v_mul_lo_u16_sdwa v6, v64, v6 dst_sel:DWORD dst_unused:UNUSED_PAD src0_sel:BYTE_0 src1_sel:DWORD
	global_load_dwordx4 v[86:89], v7, s[8:9]
	v_sub_u16_sdwa v7, v64, v6 dst_sel:DWORD dst_unused:UNUSED_PAD src0_sel:DWORD src1_sel:BYTE_1
	v_lshrrev_b16_e32 v7, 1, v7
	v_and_b32_e32 v7, 0x7f, v7
	v_add_u16_sdwa v6, v7, v6 dst_sel:DWORD dst_unused:UNUSED_PAD src0_sel:DWORD src1_sel:BYTE_1
	v_lshrrev_b16_e32 v104, 2, v6
	v_mul_lo_u16_e32 v6, 7, v104
	v_sub_u16_e32 v105, v64, v6
	v_lshlrev_b32_sdwa v6, v30, v105 dst_sel:DWORD dst_unused:UNUSED_PAD src0_sel:DWORD src1_sel:BYTE_0
	global_load_dwordx4 v[90:93], v6, s[8:9]
	ds_read2_b64 v[94:97], v41 offset0:112 offset1:128
	s_movk_i32 s4, 0x70
	v_cmp_gt_u32_e64 s[0:1], 14, v58
	s_movk_i32 s5, 0xe0
	s_waitcnt vmcnt(6) lgkmcnt(0)
	v_mul_f64 v[44:45], v[94:95], v[34:35]
	v_mul_f64 v[6:7], v[12:13], v[34:35]
	v_fmac_f64_e32 v[44:45], v[12:13], v[32:33]
	v_fma_f64 v[12:13], v[94:95], v[32:33], -v[6:7]
	ds_read2_b64 v[32:35], v41 offset0:144 offset1:160
	s_waitcnt vmcnt(5)
	v_mul_f64 v[54:55], v[96:97], v[38:39]
	v_mul_f64 v[6:7], v[14:15], v[38:39]
	v_fmac_f64_e32 v[54:55], v[14:15], v[36:37]
	v_fma_f64 v[36:37], v[96:97], v[36:37], -v[6:7]
	s_waitcnt vmcnt(4) lgkmcnt(0)
	v_mul_f64 v[14:15], v[32:33], v[76:77]
	v_mul_f64 v[6:7], v[8:9], v[76:77]
	v_fmac_f64_e32 v[14:15], v[8:9], v[74:75]
	v_fma_f64 v[38:39], v[32:33], v[74:75], -v[6:7]
	ds_read2_b64 v[6:9], v41 offset0:176 offset1:192
	s_waitcnt vmcnt(3)
	v_mul_f64 v[32:33], v[34:35], v[80:81]
	v_fmac_f64_e32 v[32:33], v[10:11], v[78:79]
	v_mul_f64 v[10:11], v[10:11], v[80:81]
	v_fma_f64 v[74:75], v[34:35], v[78:79], -v[10:11]
	s_waitcnt vmcnt(2) lgkmcnt(0)
	v_mul_f64 v[10:11], v[6:7], v[84:85]
	v_fmac_f64_e32 v[10:11], v[0:1], v[82:83]
	v_mul_f64 v[0:1], v[0:1], v[84:85]
	v_fma_f64 v[76:77], v[6:7], v[82:83], -v[0:1]
	ds_read_b64 v[6:7], v41 offset:1664
	s_waitcnt vmcnt(1)
	v_mul_f64 v[0:1], v[8:9], v[88:89]
	v_fmac_f64_e32 v[0:1], v[2:3], v[86:87]
	v_mul_f64 v[2:3], v[2:3], v[88:89]
	v_fma_f64 v[78:79], v[8:9], v[86:87], -v[2:3]
	ds_read_b64 v[80:81], v43
	ds_read_b64 v[82:83], v42
	;; [unrolled: 1-line block ×3, first 2 shown]
	v_add_f64 v[0:1], v[16:17], -v[0:1]
	s_waitcnt vmcnt(0) lgkmcnt(3)
	v_mul_f64 v[8:9], v[6:7], v[92:93]
	v_fmac_f64_e32 v[8:9], v[28:29], v[90:91]
	v_mul_f64 v[28:29], v[28:29], v[92:93]
	v_fma_f64 v[84:85], v[6:7], v[90:91], -v[28:29]
	v_mov_b32_e32 v28, 3
	v_mad_u32_u24 v6, v31, s4, 0
	v_lshlrev_b32_sdwa v7, v28, v53 dst_sel:DWORD dst_unused:UNUSED_PAD src0_sel:DWORD src1_sel:BYTE_0
	v_add3_u32 v29, v6, v7, v50
	v_add_f64 v[6:7], v[22:23], -v[44:45]
	v_fma_f64 v[22:23], v[22:23], 2.0, -v[6:7]
	ds_read_b64 v[44:45], v46
	ds_read_b64 v[86:87], v47
	;; [unrolled: 1-line block ×4, first 2 shown]
	s_waitcnt lgkmcnt(0)
	; wave barrier
	s_waitcnt lgkmcnt(0)
	ds_write2_b64 v29, v[22:23], v[6:7] offset1:7
	v_mad_u32_u24 v6, v63, s4, 0
	v_lshlrev_b32_sdwa v7, v28, v65 dst_sel:DWORD dst_unused:UNUSED_PAD src0_sel:DWORD src1_sel:BYTE_0
	v_add3_u32 v31, v6, v7, v50
	v_add_f64 v[6:7], v[26:27], -v[54:55]
	v_fma_f64 v[22:23], v[26:27], 2.0, -v[6:7]
	ds_write2_b64 v31, v[22:23], v[6:7] offset1:7
	v_mad_u32_u24 v6, v67, s4, 0
	v_lshlrev_b32_sdwa v7, v28, v69 dst_sel:DWORD dst_unused:UNUSED_PAD src0_sel:DWORD src1_sel:BYTE_0
	v_add3_u32 v53, v6, v7, v50
	v_add_f64 v[6:7], v[24:25], -v[14:15]
	v_fma_f64 v[14:15], v[24:25], 2.0, -v[6:7]
	;; [unrolled: 6-line block ×3, first 2 shown]
	v_add_f64 v[12:13], v[2:3], -v[12:13]
	ds_write2_b64 v63, v[14:15], v[6:7] offset1:7
	v_mad_u32_u24 v6, v100, s4, 0
	v_lshlrev_b32_sdwa v7, v28, v101 dst_sel:DWORD dst_unused:UNUSED_PAD src0_sel:DWORD src1_sel:BYTE_0
	v_fma_f64 v[26:27], v[2:3], 2.0, -v[12:13]
	v_add_f64 v[2:3], v[18:19], -v[10:11]
	v_add3_u32 v65, v6, v7, v50
	v_fma_f64 v[6:7], v[18:19], 2.0, -v[2:3]
	ds_write2_b64 v65, v[6:7], v[2:3] offset1:7
	v_mad_u32_u24 v2, v102, s4, 0
	v_lshlrev_b32_sdwa v3, v28, v103 dst_sel:DWORD dst_unused:UNUSED_PAD src0_sel:DWORD src1_sel:BYTE_0
	v_fma_f64 v[10:11], v[16:17], 2.0, -v[0:1]
	v_add3_u32 v67, v2, v3, v50
	v_add_f64 v[8:9], v[4:5], -v[8:9]
	ds_write2_b64 v67, v[10:11], v[0:1] offset1:7
	v_mad_u32_u24 v0, v104, s4, 0
	v_lshlrev_b32_sdwa v1, v28, v105 dst_sel:DWORD dst_unused:UNUSED_PAD src0_sel:DWORD src1_sel:BYTE_0
	v_fma_f64 v[4:5], v[4:5], 2.0, -v[8:9]
	v_add3_u32 v69, v0, v1, v50
	ds_write2_b64 v69, v[4:5], v[8:9] offset1:7
	s_waitcnt lgkmcnt(0)
	; wave barrier
	s_waitcnt lgkmcnt(0)
	ds_read_b64 v[14:15], v40
	ds_read_b64 v[6:7], v46
	;; [unrolled: 1-line block ×7, first 2 shown]
	ds_read_b64 v[16:17], v41 offset:1664
	ds_read2_b64 v[18:21], v41 offset0:112 offset1:128
	ds_read2_b64 v[22:25], v41 offset0:144 offset1:160
	ds_read2_b64 v[32:35], v41 offset0:176 offset1:192
	s_waitcnt lgkmcnt(0)
	; wave barrier
	s_waitcnt lgkmcnt(0)
	ds_write2_b64 v29, v[26:27], v[12:13] offset1:7
	v_add_f64 v[12:13], v[82:83], -v[36:37]
	v_fma_f64 v[26:27], v[82:83], 2.0, -v[12:13]
	ds_write2_b64 v31, v[26:27], v[12:13] offset1:7
	v_add_f64 v[12:13], v[80:81], -v[38:39]
	v_fma_f64 v[26:27], v[80:81], 2.0, -v[12:13]
	v_mov_b32_e32 v29, 1
	ds_write2_b64 v53, v[26:27], v[12:13] offset1:7
	v_add_f64 v[12:13], v[44:45], -v[74:75]
	v_lshrrev_b16_sdwa v31, v29, v72 dst_sel:DWORD dst_unused:UNUSED_PAD src0_sel:DWORD src1_sel:BYTE_0
	v_fma_f64 v[26:27], v[44:45], 2.0, -v[12:13]
	v_add_f64 v[36:37], v[86:87], -v[76:77]
	v_add_f64 v[44:45], v[88:89], -v[78:79]
	;; [unrolled: 1-line block ×3, first 2 shown]
	v_mul_lo_u16_e32 v31, 0x93, v31
	v_fma_f64 v[38:39], v[86:87], 2.0, -v[36:37]
	v_fma_f64 v[54:55], v[88:89], 2.0, -v[44:45]
	;; [unrolled: 1-line block ×3, first 2 shown]
	ds_write2_b64 v63, v[26:27], v[12:13] offset1:7
	ds_write2_b64 v65, v[38:39], v[36:37] offset1:7
	;; [unrolled: 1-line block ×4, first 2 shown]
	v_add_u32_e32 v12, -14, v58
	v_lshrrev_b16_e32 v31, 10, v31
	v_cndmask_b32_e64 v12, v12, v58, s[0:1]
	v_mov_b32_e32 v13, 0
	v_mul_lo_u16_e32 v36, 14, v31
	v_lshl_add_u64 v[26:27], v[12:13], 4, s[8:9]
	v_sub_u16_e32 v53, v72, v36
	s_waitcnt lgkmcnt(0)
	; wave barrier
	s_waitcnt lgkmcnt(0)
	v_lshlrev_b32_sdwa v44, v30, v53 dst_sel:DWORD dst_unused:UNUSED_PAD src0_sel:DWORD src1_sel:BYTE_0
	global_load_dwordx4 v[36:39], v[26:27], off offset:112
	global_load_dwordx4 v[74:77], v44, s[8:9] offset:112
	v_lshrrev_b16_sdwa v26, v29, v70 dst_sel:DWORD dst_unused:UNUSED_PAD src0_sel:DWORD src1_sel:BYTE_0
	v_mul_lo_u16_e32 v26, 0x93, v26
	v_lshrrev_b16_sdwa v27, v29, v66 dst_sel:DWORD dst_unused:UNUSED_PAD src0_sel:DWORD src1_sel:BYTE_0
	v_lshrrev_b16_e32 v63, 10, v26
	v_mul_lo_u16_e32 v27, 0x93, v27
	v_mul_lo_u16_e32 v26, 14, v63
	v_lshrrev_b16_e32 v67, 10, v27
	v_sub_u16_e32 v65, v70, v26
	v_mul_lo_u16_e32 v27, 14, v67
	v_lshlrev_b32_sdwa v26, v30, v65 dst_sel:DWORD dst_unused:UNUSED_PAD src0_sel:DWORD src1_sel:BYTE_0
	v_sub_u16_e32 v69, v66, v27
	v_lshlrev_b32_sdwa v27, v30, v69 dst_sel:DWORD dst_unused:UNUSED_PAD src0_sel:DWORD src1_sel:BYTE_0
	global_load_dwordx4 v[78:81], v26, s[8:9] offset:112
	global_load_dwordx4 v[82:85], v27, s[8:9] offset:112
	v_lshrrev_b16_sdwa v26, v29, v62 dst_sel:DWORD dst_unused:UNUSED_PAD src0_sel:DWORD src1_sel:BYTE_0
	v_mul_lo_u16_e32 v26, 0x93, v26
	v_lshrrev_b16_e32 v102, 10, v26
	v_mul_lo_u16_e32 v26, 14, v102
	v_lshrrev_b16_sdwa v27, v29, v68 dst_sel:DWORD dst_unused:UNUSED_PAD src0_sel:DWORD src1_sel:BYTE_0
	v_sub_u16_e32 v103, v62, v26
	v_mul_lo_u16_e32 v27, 0x93, v27
	v_lshlrev_b32_sdwa v26, v30, v103 dst_sel:DWORD dst_unused:UNUSED_PAD src0_sel:DWORD src1_sel:BYTE_0
	v_lshrrev_b16_e32 v104, 10, v27
	global_load_dwordx4 v[86:89], v26, s[8:9] offset:112
	v_mul_lo_u16_e32 v26, 14, v104
	v_sub_u16_e32 v105, v68, v26
	v_lshlrev_b32_sdwa v26, v30, v105 dst_sel:DWORD dst_unused:UNUSED_PAD src0_sel:DWORD src1_sel:BYTE_0
	global_load_dwordx4 v[90:93], v26, s[8:9] offset:112
	v_lshrrev_b16_sdwa v26, v29, v64 dst_sel:DWORD dst_unused:UNUSED_PAD src0_sel:DWORD src1_sel:BYTE_0
	v_mul_lo_u16_e32 v26, 0x93, v26
	v_lshrrev_b16_e32 v29, 10, v26
	v_mul_lo_u16_e32 v26, 14, v29
	v_sub_u16_e32 v106, v64, v26
	v_lshlrev_b32_sdwa v26, v30, v106 dst_sel:DWORD dst_unused:UNUSED_PAD src0_sel:DWORD src1_sel:BYTE_0
	global_load_dwordx4 v[94:97], v26, s[8:9] offset:112
	ds_read2_b64 v[98:101], v41 offset0:112 offset1:128
	v_cmp_lt_u32_e64 s[0:1], 13, v58
	v_lshlrev_b32_e32 v12, 3, v12
	s_waitcnt vmcnt(6) lgkmcnt(0)
	v_mul_f64 v[26:27], v[98:99], v[38:39]
	v_fmac_f64_e32 v[26:27], v[18:19], v[36:37]
	v_mul_f64 v[18:19], v[18:19], v[38:39]
	v_fma_f64 v[44:45], v[98:99], v[36:37], -v[18:19]
	ds_read2_b64 v[36:39], v41 offset0:144 offset1:160
	s_waitcnt vmcnt(5)
	v_mul_f64 v[54:55], v[100:101], v[76:77]
	v_mul_f64 v[18:19], v[20:21], v[76:77]
	v_fmac_f64_e32 v[54:55], v[20:21], v[74:75]
	v_fma_f64 v[74:75], v[100:101], v[74:75], -v[18:19]
	s_waitcnt vmcnt(4)
	v_mul_f64 v[18:19], v[22:23], v[80:81]
	s_waitcnt lgkmcnt(0)
	v_mul_f64 v[76:77], v[36:37], v[80:81]
	v_fma_f64 v[36:37], v[36:37], v[78:79], -v[18:19]
	ds_read2_b64 v[18:21], v41 offset0:176 offset1:192
	v_fmac_f64_e32 v[76:77], v[22:23], v[78:79]
	s_waitcnt vmcnt(3)
	v_mul_f64 v[22:23], v[38:39], v[84:85]
	v_fmac_f64_e32 v[22:23], v[24:25], v[82:83]
	v_mul_f64 v[24:25], v[24:25], v[84:85]
	v_fma_f64 v[38:39], v[38:39], v[82:83], -v[24:25]
	s_waitcnt vmcnt(2) lgkmcnt(0)
	v_mul_f64 v[24:25], v[18:19], v[88:89]
	v_fmac_f64_e32 v[24:25], v[32:33], v[86:87]
	v_mul_f64 v[32:33], v[32:33], v[88:89]
	v_fma_f64 v[78:79], v[18:19], v[86:87], -v[32:33]
	s_waitcnt vmcnt(1)
	v_mul_f64 v[18:19], v[20:21], v[92:93]
	v_fmac_f64_e32 v[18:19], v[34:35], v[90:91]
	v_mul_f64 v[32:33], v[34:35], v[92:93]
	ds_read_b64 v[34:35], v41 offset:1664
	v_fma_f64 v[80:81], v[20:21], v[90:91], -v[32:33]
	ds_read_b64 v[82:83], v43
	ds_read_b64 v[84:85], v42
	;; [unrolled: 1-line block ×3, first 2 shown]
	s_waitcnt vmcnt(0) lgkmcnt(3)
	v_mul_f64 v[32:33], v[34:35], v[96:97]
	v_fmac_f64_e32 v[32:33], v[16:17], v[94:95]
	v_mul_f64 v[16:17], v[16:17], v[96:97]
	v_fma_f64 v[86:87], v[34:35], v[94:95], -v[16:17]
	v_mov_b32_e32 v16, 0xe0
	v_cndmask_b32_e64 v16, 0, v16, s[0:1]
	v_add_u32_e32 v16, 0, v16
	v_add3_u32 v12, v16, v12, v50
	v_add_f64 v[16:17], v[14:15], -v[26:27]
	v_fma_f64 v[14:15], v[14:15], 2.0, -v[16:17]
	ds_read_b64 v[88:89], v46
	ds_read_b64 v[90:91], v47
	;; [unrolled: 1-line block ×4, first 2 shown]
	s_waitcnt lgkmcnt(0)
	; wave barrier
	s_waitcnt lgkmcnt(0)
	ds_write2_b64 v12, v[14:15], v[16:17] offset1:14
	v_mad_u32_u24 v14, v31, s5, 0
	v_lshlrev_b32_sdwa v15, v28, v53 dst_sel:DWORD dst_unused:UNUSED_PAD src0_sel:DWORD src1_sel:BYTE_0
	v_add3_u32 v31, v14, v15, v50
	v_add_f64 v[14:15], v[10:11], -v[54:55]
	v_fma_f64 v[10:11], v[10:11], 2.0, -v[14:15]
	ds_write2_b64 v31, v[10:11], v[14:15] offset1:14
	v_mad_u32_u24 v10, v63, s5, 0
	v_lshlrev_b32_sdwa v11, v28, v65 dst_sel:DWORD dst_unused:UNUSED_PAD src0_sel:DWORD src1_sel:BYTE_0
	v_add3_u32 v53, v10, v11, v50
	v_add_f64 v[10:11], v[8:9], -v[76:77]
	v_fma_f64 v[8:9], v[8:9], 2.0, -v[10:11]
	ds_write2_b64 v53, v[8:9], v[10:11] offset1:14
	v_mad_u32_u24 v8, v67, s5, 0
	v_lshlrev_b32_sdwa v9, v28, v69 dst_sel:DWORD dst_unused:UNUSED_PAD src0_sel:DWORD src1_sel:BYTE_0
	v_add3_u32 v54, v8, v9, v50
	v_add_f64 v[8:9], v[6:7], -v[22:23]
	v_fma_f64 v[6:7], v[6:7], 2.0, -v[8:9]
	ds_write2_b64 v54, v[6:7], v[8:9] offset1:14
	v_mad_u32_u24 v6, v102, s5, 0
	v_lshlrev_b32_sdwa v7, v28, v103 dst_sel:DWORD dst_unused:UNUSED_PAD src0_sel:DWORD src1_sel:BYTE_0
	v_add3_u32 v63, v6, v7, v50
	v_add_f64 v[6:7], v[4:5], -v[24:25]
	v_fma_f64 v[4:5], v[4:5], 2.0, -v[6:7]
	ds_write2_b64 v63, v[4:5], v[6:7] offset1:14
	v_add_f64 v[4:5], v[2:3], -v[18:19]
	v_mad_u32_u24 v8, v104, s5, 0
	v_lshlrev_b32_sdwa v9, v28, v105 dst_sel:DWORD dst_unused:UNUSED_PAD src0_sel:DWORD src1_sel:BYTE_0
	v_fma_f64 v[2:3], v[2:3], 2.0, -v[4:5]
	v_add3_u32 v65, v8, v9, v50
	v_add_f64 v[14:15], v[20:21], -v[44:45]
	v_add_f64 v[6:7], v[0:1], -v[32:33]
	ds_write2_b64 v65, v[2:3], v[4:5] offset1:14
	v_mad_u32_u24 v2, v29, s5, 0
	v_lshlrev_b32_sdwa v3, v28, v106 dst_sel:DWORD dst_unused:UNUSED_PAD src0_sel:DWORD src1_sel:BYTE_0
	v_fma_f64 v[44:45], v[20:21], 2.0, -v[14:15]
	v_fma_f64 v[0:1], v[0:1], 2.0, -v[6:7]
	v_add3_u32 v29, v2, v3, v50
	ds_write2_b64 v29, v[0:1], v[6:7] offset1:14
	s_waitcnt lgkmcnt(0)
	; wave barrier
	s_waitcnt lgkmcnt(0)
	ds_read_b64 v[16:17], v40
	ds_read_b64 v[6:7], v46
	;; [unrolled: 1-line block ×7, first 2 shown]
	ds_read_b64 v[18:19], v41 offset:1664
	ds_read2_b64 v[20:23], v41 offset0:112 offset1:128
	ds_read2_b64 v[24:27], v41 offset0:144 offset1:160
	;; [unrolled: 1-line block ×3, first 2 shown]
	s_waitcnt lgkmcnt(0)
	; wave barrier
	s_waitcnt lgkmcnt(0)
	ds_write2_b64 v12, v[44:45], v[14:15] offset1:14
	v_add_f64 v[14:15], v[84:85], -v[74:75]
	v_fma_f64 v[44:45], v[84:85], 2.0, -v[14:15]
	ds_write2_b64 v31, v[44:45], v[14:15] offset1:14
	v_add_f64 v[14:15], v[82:83], -v[36:37]
	v_fma_f64 v[36:37], v[82:83], 2.0, -v[14:15]
	;; [unrolled: 3-line block ×4, first 2 shown]
	v_add_f64 v[38:39], v[92:93], -v[80:81]
	v_add_f64 v[54:55], v[94:95], -v[86:87]
	v_fma_f64 v[44:45], v[92:93], 2.0, -v[38:39]
	v_fma_f64 v[74:75], v[94:95], 2.0, -v[54:55]
	ds_write2_b64 v63, v[36:37], v[14:15] offset1:14
	ds_write2_b64 v65, v[44:45], v[38:39] offset1:14
	;; [unrolled: 1-line block ×3, first 2 shown]
	v_mov_b32_e32 v29, 2
	v_lshrrev_b16_sdwa v31, v29, v66 dst_sel:DWORD dst_unused:UNUSED_PAD src0_sel:DWORD src1_sel:BYTE_0
	v_mul_lo_u16_e32 v31, 37, v31
	v_lshl_add_u64 v[14:15], v[58:59], 4, s[8:9]
	v_lshrrev_b16_e32 v53, 8, v31
	s_waitcnt lgkmcnt(0)
	; wave barrier
	s_waitcnt lgkmcnt(0)
	v_add_u32_e32 v12, -12, v58
	v_cmp_gt_u32_e64 s[0:1], 28, v72
	global_load_dwordx4 v[36:39], v[14:15], off offset:336
	global_load_dwordx4 v[74:77], v[14:15], off offset:400
	v_mul_lo_u16_e32 v31, 28, v53
	v_cndmask_b32_e64 v12, v12, v72, s[0:1]
	v_sub_u16_e32 v59, v66, v31
	v_lshl_add_u64 v[44:45], v[12:13], 4, s[8:9]
	v_lshlrev_b32_sdwa v31, v30, v59 dst_sel:DWORD dst_unused:UNUSED_PAD src0_sel:DWORD src1_sel:BYTE_0
	global_load_dwordx4 v[78:81], v[44:45], off offset:336
	global_load_dwordx4 v[82:85], v31, s[8:9] offset:336
	v_lshrrev_b16_sdwa v31, v29, v62 dst_sel:DWORD dst_unused:UNUSED_PAD src0_sel:DWORD src1_sel:BYTE_0
	v_mul_lo_u16_e32 v31, 37, v31
	v_mov_b32_e32 v44, 28
	v_mul_lo_u16_sdwa v31, v31, v44 dst_sel:DWORD dst_unused:UNUSED_PAD src0_sel:BYTE_1 src1_sel:DWORD
	v_sub_u16_e32 v31, v62, v31
	v_lshrrev_b16_sdwa v45, v29, v68 dst_sel:DWORD dst_unused:UNUSED_PAD src0_sel:DWORD src1_sel:BYTE_0
	v_and_b32_e32 v63, 0xff, v31
	v_mul_lo_u16_e32 v45, 37, v45
	v_lshrrev_b16_sdwa v29, v29, v64 dst_sel:DWORD dst_unused:UNUSED_PAD src0_sel:DWORD src1_sel:BYTE_0
	v_lshlrev_b32_e32 v31, 4, v63
	v_lshrrev_b16_e32 v65, 8, v45
	v_mul_lo_u16_e32 v29, 37, v29
	global_load_dwordx4 v[86:89], v31, s[8:9] offset:336
	v_mul_lo_u16_e32 v31, 28, v65
	v_mul_lo_u16_sdwa v29, v29, v44 dst_sel:DWORD dst_unused:UNUSED_PAD src0_sel:BYTE_1 src1_sel:DWORD
	v_sub_u16_e32 v67, v68, v31
	v_sub_u16_e32 v29, v64, v29
	v_lshlrev_b32_sdwa v30, v30, v67 dst_sel:DWORD dst_unused:UNUSED_PAD src0_sel:DWORD src1_sel:BYTE_0
	v_and_b32_e32 v29, 0xff, v29
	global_load_dwordx4 v[90:93], v30, s[8:9] offset:336
	v_lshlrev_b32_e32 v30, 4, v29
	global_load_dwordx4 v[94:97], v30, s[8:9] offset:336
	ds_read2_b64 v[98:101], v41 offset0:112 offset1:128
	v_cmp_lt_u32_e64 s[0:1], 27, v72
	v_lshlrev_b32_e32 v12, 3, v12
	v_add3_u32 v69, 0, v52, v50
	s_waitcnt vmcnt(6) lgkmcnt(0)
	v_mul_f64 v[30:31], v[98:99], v[38:39]
	v_fmac_f64_e32 v[30:31], v[20:21], v[36:37]
	v_mul_f64 v[20:21], v[20:21], v[38:39]
	v_fma_f64 v[44:45], v[98:99], v[36:37], -v[20:21]
	ds_read2_b64 v[36:39], v41 offset0:144 offset1:160
	v_add_f64 v[30:31], v[16:17], -v[30:31]
	v_fma_f64 v[16:17], v[16:17], 2.0, -v[30:31]
	s_waitcnt vmcnt(4)
	v_mul_f64 v[54:55], v[100:101], v[80:81]
	v_mul_f64 v[20:21], v[22:23], v[80:81]
	v_fmac_f64_e32 v[54:55], v[22:23], v[78:79]
	v_fma_f64 v[78:79], v[100:101], v[78:79], -v[20:21]
	v_mul_f64 v[20:21], v[24:25], v[76:77]
	s_waitcnt lgkmcnt(0)
	v_mul_f64 v[80:81], v[36:37], v[76:77]
	v_fma_f64 v[36:37], v[36:37], v[74:75], -v[20:21]
	ds_read2_b64 v[20:23], v41 offset0:176 offset1:192
	v_fmac_f64_e32 v[80:81], v[24:25], v[74:75]
	ds_read_b64 v[74:75], v41 offset:1664
	s_waitcnt vmcnt(3)
	v_mul_f64 v[24:25], v[38:39], v[84:85]
	v_fmac_f64_e32 v[24:25], v[26:27], v[82:83]
	v_mul_f64 v[26:27], v[26:27], v[84:85]
	v_fma_f64 v[38:39], v[38:39], v[82:83], -v[26:27]
	s_waitcnt vmcnt(2) lgkmcnt(1)
	v_mul_f64 v[26:27], v[20:21], v[88:89]
	v_fmac_f64_e32 v[26:27], v[32:33], v[86:87]
	v_mul_f64 v[32:33], v[32:33], v[88:89]
	v_fma_f64 v[32:33], v[20:21], v[86:87], -v[32:33]
	s_waitcnt vmcnt(1)
	v_mul_f64 v[20:21], v[22:23], v[92:93]
	v_fmac_f64_e32 v[20:21], v[34:35], v[90:91]
	s_waitcnt vmcnt(0) lgkmcnt(0)
	v_mul_f64 v[84:85], v[74:75], v[96:97]
	v_mul_f64 v[34:35], v[34:35], v[92:93]
	v_fmac_f64_e32 v[84:85], v[18:19], v[94:95]
	v_mul_f64 v[18:19], v[18:19], v[96:97]
	v_fma_f64 v[34:35], v[22:23], v[90:91], -v[34:35]
	ds_read_b64 v[76:77], v43
	ds_read_b64 v[82:83], v42
	;; [unrolled: 1-line block ×3, first 2 shown]
	v_fma_f64 v[18:19], v[74:75], v[94:95], -v[18:19]
	ds_read_b64 v[74:75], v46
	ds_read_b64 v[86:87], v47
	;; [unrolled: 1-line block ×4, first 2 shown]
	s_waitcnt lgkmcnt(0)
	; wave barrier
	s_waitcnt lgkmcnt(0)
	ds_write2_b64 v41, v[16:17], v[30:31] offset1:28
	v_mov_b32_e32 v16, 0x1c0
	v_cndmask_b32_e64 v16, 0, v16, s[0:1]
	v_add_u32_e32 v16, 0, v16
	v_add3_u32 v12, v16, v12, v50
	v_add_f64 v[16:17], v[10:11], -v[54:55]
	v_fma_f64 v[10:11], v[10:11], 2.0, -v[16:17]
	ds_write2_b64 v12, v[10:11], v[16:17] offset1:28
	v_add_f64 v[10:11], v[8:9], -v[80:81]
	v_fma_f64 v[8:9], v[8:9], 2.0, -v[10:11]
	s_movk_i32 s0, 0x1c0
	ds_write2_b64 v69, v[8:9], v[10:11] offset0:60 offset1:88
	v_mad_u32_u24 v8, v53, s0, 0
	v_lshlrev_b32_sdwa v9, v28, v59 dst_sel:DWORD dst_unused:UNUSED_PAD src0_sel:DWORD src1_sel:BYTE_0
	v_add3_u32 v54, v8, v9, v50
	v_add_f64 v[8:9], v[6:7], -v[24:25]
	v_fma_f64 v[6:7], v[6:7], 2.0, -v[8:9]
	ds_write2_b64 v54, v[6:7], v[8:9] offset1:28
	v_add_f64 v[6:7], v[2:3], -v[26:27]
	v_fma_f64 v[2:3], v[2:3], 2.0, -v[6:7]
	v_lshl_add_u32 v55, v63, 3, v51
	v_add_f64 v[16:17], v[22:23], -v[44:45]
	v_add_f64 v[8:9], v[4:5], -v[20:21]
	;; [unrolled: 1-line block ×3, first 2 shown]
	ds_write2_b64 v55, v[2:3], v[6:7] offset0:112 offset1:140
	v_mad_u32_u24 v2, v65, s0, 0
	v_lshlrev_b32_sdwa v3, v28, v67 dst_sel:DWORD dst_unused:UNUSED_PAD src0_sel:DWORD src1_sel:BYTE_0
	v_fma_f64 v[44:45], v[22:23], 2.0, -v[16:17]
	v_fma_f64 v[4:5], v[4:5], 2.0, -v[8:9]
	;; [unrolled: 1-line block ×3, first 2 shown]
	v_add3_u32 v59, v2, v3, v50
	v_lshl_add_u32 v51, v29, 3, v51
	ds_write2_b64 v59, v[4:5], v[8:9] offset1:28
	ds_write2_b64 v51, v[0:1], v[10:11] offset0:168 offset1:196
	s_waitcnt lgkmcnt(0)
	; wave barrier
	s_waitcnt lgkmcnt(0)
	ds_read_b64 v[92:93], v40
	ds_read_b64 v[6:7], v46
	;; [unrolled: 1-line block ×7, first 2 shown]
	ds_read_b64 v[94:95], v41 offset:1664
	ds_read2_b64 v[20:23], v41 offset0:112 offset1:128
	ds_read2_b64 v[24:27], v41 offset0:144 offset1:160
	;; [unrolled: 1-line block ×3, first 2 shown]
	s_waitcnt lgkmcnt(0)
	; wave barrier
	s_waitcnt lgkmcnt(0)
	ds_write2_b64 v41, v[44:45], v[16:17] offset1:28
	v_add_f64 v[16:17], v[82:83], -v[78:79]
	v_fma_f64 v[44:45], v[82:83], 2.0, -v[16:17]
	ds_write2_b64 v12, v[44:45], v[16:17] offset1:28
	v_add_f64 v[16:17], v[76:77], -v[36:37]
	v_fma_f64 v[36:37], v[76:77], 2.0, -v[16:17]
	ds_write2_b64 v69, v[36:37], v[16:17] offset0:60 offset1:88
	v_add_f64 v[16:17], v[74:75], -v[38:39]
	v_fma_f64 v[36:37], v[74:75], 2.0, -v[16:17]
	v_add_f64 v[32:33], v[86:87], -v[32:33]
	v_add_f64 v[34:35], v[88:89], -v[34:35]
	;; [unrolled: 1-line block ×3, first 2 shown]
	v_fma_f64 v[38:39], v[86:87], 2.0, -v[32:33]
	v_fma_f64 v[44:45], v[88:89], 2.0, -v[34:35]
	;; [unrolled: 1-line block ×3, first 2 shown]
	ds_write2_b64 v54, v[36:37], v[16:17] offset1:28
	ds_write2_b64 v55, v[38:39], v[32:33] offset0:112 offset1:140
	ds_write2_b64 v59, v[44:45], v[34:35] offset1:28
	ds_write2_b64 v51, v[52:53], v[18:19] offset0:168 offset1:196
	s_waitcnt lgkmcnt(0)
	; wave barrier
	s_waitcnt lgkmcnt(0)
	global_load_dwordx4 v[32:35], v[14:15], off offset:784
	v_lshl_add_u64 v[16:17], v[72:73], 4, s[8:9]
	global_load_dwordx4 v[36:39], v[16:17], off offset:784
	v_lshl_add_u64 v[18:19], v[70:71], 4, s[8:9]
	global_load_dwordx4 v[52:55], v[18:19], off offset:784
	v_add_u32_e32 v12, -8, v58
	v_cmp_gt_u32_e64 s[0:1], 56, v66
	s_nop 1
	v_cndmask_b32_e64 v12, v12, v66, s[0:1]
	v_lshl_add_u64 v[44:45], v[12:13], 4, s[8:9]
	global_load_dwordx4 v[70:73], v[44:45], off offset:784
	global_load_dwordx4 v[74:77], v[14:15], off offset:912
	;; [unrolled: 1-line block ×4, first 2 shown]
	ds_read2_b64 v[86:89], v41 offset0:112 offset1:128
	v_cmp_lt_u32_e64 s[0:1], 55, v66
	s_waitcnt vmcnt(6) lgkmcnt(0)
	v_mul_f64 v[44:45], v[86:87], v[34:35]
	v_fmac_f64_e32 v[44:45], v[20:21], v[32:33]
	v_mul_f64 v[20:21], v[20:21], v[34:35]
	v_fma_f64 v[86:87], v[86:87], v[32:33], -v[20:21]
	ds_read2_b64 v[32:35], v41 offset0:144 offset1:160
	s_waitcnt vmcnt(5)
	v_mul_f64 v[90:91], v[88:89], v[38:39]
	v_mul_f64 v[20:21], v[22:23], v[38:39]
	v_fmac_f64_e32 v[90:91], v[22:23], v[36:37]
	v_fma_f64 v[36:37], v[88:89], v[36:37], -v[20:21]
	s_waitcnt vmcnt(4) lgkmcnt(0)
	v_mul_f64 v[38:39], v[32:33], v[54:55]
	v_mul_f64 v[20:21], v[24:25], v[54:55]
	v_fmac_f64_e32 v[38:39], v[24:25], v[52:53]
	v_fma_f64 v[52:53], v[32:33], v[52:53], -v[20:21]
	ds_read2_b64 v[20:23], v41 offset0:176 offset1:192
	s_waitcnt vmcnt(3)
	v_mul_f64 v[24:25], v[34:35], v[72:73]
	v_fmac_f64_e32 v[24:25], v[26:27], v[70:71]
	v_mul_f64 v[26:27], v[26:27], v[72:73]
	v_fma_f64 v[54:55], v[34:35], v[70:71], -v[26:27]
	s_waitcnt vmcnt(2) lgkmcnt(0)
	v_mul_f64 v[26:27], v[20:21], v[76:77]
	v_fmac_f64_e32 v[26:27], v[28:29], v[74:75]
	v_mul_f64 v[28:29], v[28:29], v[76:77]
	v_fma_f64 v[70:71], v[20:21], v[74:75], -v[28:29]
	ds_read_b64 v[28:29], v41 offset:1664
	s_waitcnt vmcnt(1)
	v_mul_f64 v[20:21], v[22:23], v[80:81]
	v_fmac_f64_e32 v[20:21], v[30:31], v[78:79]
	v_mul_f64 v[30:31], v[30:31], v[80:81]
	s_waitcnt vmcnt(0)
	v_mul_f64 v[32:33], v[94:95], v[84:85]
	v_fma_f64 v[72:73], v[22:23], v[78:79], -v[30:31]
	s_waitcnt lgkmcnt(0)
	v_mul_f64 v[30:31], v[28:29], v[84:85]
	v_fma_f64 v[78:79], v[28:29], v[82:83], -v[32:33]
	v_add_f64 v[28:29], v[92:93], -v[44:45]
	v_fma_f64 v[32:33], v[92:93], 2.0, -v[28:29]
	ds_read_b64 v[74:75], v43
	ds_read_b64 v[76:77], v42
	;; [unrolled: 1-line block ×3, first 2 shown]
	v_fmac_f64_e32 v[30:31], v[94:95], v[82:83]
	ds_read_b64 v[44:45], v46
	ds_read_b64 v[80:81], v47
	;; [unrolled: 1-line block ×4, first 2 shown]
	s_waitcnt lgkmcnt(0)
	; wave barrier
	s_waitcnt lgkmcnt(0)
	ds_write2_b64 v41, v[32:33], v[28:29] offset1:56
	v_add_f64 v[28:29], v[10:11], -v[90:91]
	v_fma_f64 v[10:11], v[10:11], 2.0, -v[28:29]
	ds_write2_b64 v42, v[10:11], v[28:29] offset1:56
	v_add_f64 v[10:11], v[8:9], -v[38:39]
	v_fma_f64 v[8:9], v[8:9], 2.0, -v[10:11]
	ds_write2_b64 v43, v[8:9], v[10:11] offset1:56
	v_mov_b32_e32 v8, 0x380
	v_add_f64 v[86:87], v[22:23], -v[86:87]
	v_cndmask_b32_e64 v8, 0, v8, s[0:1]
	v_fma_f64 v[88:89], v[22:23], 2.0, -v[86:87]
	v_add_f64 v[22:23], v[6:7], -v[24:25]
	v_add_f64 v[24:25], v[2:3], -v[26:27]
	;; [unrolled: 1-line block ×4, first 2 shown]
	v_add_u32_e32 v8, 0, v8
	v_lshlrev_b32_e32 v9, 3, v12
	v_fma_f64 v[6:7], v[6:7], 2.0, -v[22:23]
	v_fma_f64 v[2:3], v[2:3], 2.0, -v[24:25]
	;; [unrolled: 1-line block ×4, first 2 shown]
	v_add3_u32 v12, v8, v9, v50
	ds_write2_b64 v12, v[6:7], v[22:23] offset1:56
	ds_write2_b64 v69, v[2:3], v[4:5] offset0:120 offset1:136
	ds_write2_b64 v69, v[0:1], v[24:25] offset0:152 offset1:176
	;; [unrolled: 1-line block ×3, first 2 shown]
	s_waitcnt lgkmcnt(0)
	; wave barrier
	s_waitcnt lgkmcnt(0)
	ds_read_b64 v[20:21], v40
	ds_read2_b64 v[8:11], v41 offset0:112 offset1:128
	ds_read_b64 v[22:23], v46
	ds_read_b64 v[26:27], v47
	;; [unrolled: 1-line block ×6, first 2 shown]
	ds_read_b64 v[34:35], v41 offset:1664
	ds_read2_b64 v[0:3], v41 offset0:144 offset1:160
	ds_read2_b64 v[4:7], v41 offset0:176 offset1:192
	v_add_f64 v[36:37], v[76:77], -v[36:37]
	v_fma_f64 v[38:39], v[76:77], 2.0, -v[36:37]
	s_waitcnt lgkmcnt(0)
	; wave barrier
	s_waitcnt lgkmcnt(0)
	ds_write2_b64 v41, v[88:89], v[86:87] offset1:56
	ds_write2_b64 v42, v[38:39], v[36:37] offset1:56
	v_add_f64 v[36:37], v[74:75], -v[52:53]
	v_fma_f64 v[38:39], v[74:75], 2.0, -v[36:37]
	v_add_f64 v[50:51], v[44:45], -v[54:55]
	v_add_f64 v[52:53], v[80:81], -v[70:71]
	;; [unrolled: 1-line block ×4, first 2 shown]
	v_fma_f64 v[44:45], v[44:45], 2.0, -v[50:51]
	v_fma_f64 v[54:55], v[80:81], 2.0, -v[52:53]
	;; [unrolled: 1-line block ×4, first 2 shown]
	ds_write2_b64 v43, v[38:39], v[36:37] offset1:56
	ds_write2_b64 v12, v[44:45], v[50:51] offset1:56
	ds_write2_b64 v69, v[54:55], v[72:73] offset0:120 offset1:136
	ds_write2_b64 v69, v[76:77], v[52:53] offset0:152 offset1:176
	;; [unrolled: 1-line block ×3, first 2 shown]
	s_waitcnt lgkmcnt(0)
	; wave barrier
	s_waitcnt lgkmcnt(0)
	s_and_saveexec_b64 s[0:1], vcc
	s_cbranch_execz .LBB0_15
; %bb.14:
	v_mov_b32_e32 v65, v13
	v_mov_b32_e32 v69, v13
	global_load_dwordx4 v[36:39], v[16:17], off offset:1680
	global_load_dwordx4 v[50:53], v[14:15], off offset:1680
	v_mov_b32_e32 v63, v13
	v_mov_b32_e32 v67, v13
	v_lshl_add_u64 v[12:13], v[64:65], 4, s[8:9]
	v_lshl_add_u64 v[16:17], v[68:69], 4, s[8:9]
	global_load_dwordx4 v[12:15], v[12:13], off offset:1680
	v_mul_lo_u32 v59, s3, v60
	global_load_dwordx4 v[68:71], v[16:17], off offset:1680
	v_lshl_add_u64 v[16:17], v[62:63], 4, s[8:9]
	global_load_dwordx4 v[62:65], v[16:17], off offset:1680
	v_lshl_add_u64 v[16:17], v[66:67], 4, s[8:9]
	global_load_dwordx4 v[72:75], v[16:17], off offset:1680
	global_load_dwordx4 v[76:79], v[18:19], off offset:1680
	v_mul_lo_u32 v90, s2, v61
	v_mad_u64_u32 v[66:67], s[0:1], s2, v60, 0
	ds_read2_b64 v[16:19], v41 offset0:176 offset1:192
	ds_read_b64 v[54:55], v49
	ds_read_b64 v[60:61], v48
	;; [unrolled: 1-line block ×4, first 2 shown]
	ds_read2_b64 v[44:47], v41 offset0:144 offset1:160
	ds_read_b64 v[88:89], v43
	ds_read_b64 v[42:43], v42
	ds_read2_b64 v[80:83], v41 offset0:112 offset1:128
	ds_read_b64 v[48:49], v41 offset:1664
	ds_read_b64 v[40:41], v40
	v_add3_u32 v67, v67, v90, v59
	s_mov_b32 s2, 0x24924925
	s_waitcnt vmcnt(6)
	v_mul_f64 v[90:91], v[10:11], v[38:39]
	s_waitcnt lgkmcnt(2)
	v_mul_f64 v[38:39], v[82:83], v[38:39]
	s_waitcnt vmcnt(5)
	v_mul_f64 v[92:93], v[8:9], v[52:53]
	v_mul_f64 v[52:53], v[80:81], v[52:53]
	v_fma_f64 v[82:83], v[82:83], v[36:37], -v[90:91]
	v_fmac_f64_e32 v[38:39], v[10:11], v[36:37]
	v_fma_f64 v[36:37], v[80:81], v[50:51], -v[92:93]
	v_fmac_f64_e32 v[52:53], v[8:9], v[50:51]
	v_add_f64 v[10:11], v[42:43], -v[82:83]
	v_add_f64 v[8:9], v[32:33], -v[38:39]
	s_waitcnt vmcnt(2)
	v_mul_f64 v[90:91], v[4:5], v[64:65]
	v_mul_f64 v[64:65], v[16:17], v[64:65]
	s_waitcnt vmcnt(1)
	v_mul_f64 v[92:93], v[2:3], v[74:75]
	v_mul_f64 v[74:75], v[46:47], v[74:75]
	s_waitcnt lgkmcnt(0)
	v_add_f64 v[38:39], v[40:41], -v[36:37]
	v_add_f64 v[36:37], v[20:21], -v[52:53]
	v_fmac_f64_e32 v[64:65], v[4:5], v[62:63]
	v_fma_f64 v[4:5], v[46:47], v[72:73], -v[92:93]
	v_fmac_f64_e32 v[74:75], v[2:3], v[72:73]
	v_fma_f64 v[2:3], v[42:43], 2.0, -v[10:11]
	v_add_f64 v[42:43], v[86:87], -v[4:5]
	v_fma_f64 v[4:5], v[20:21], 2.0, -v[36:37]
	v_lshrrev_b32_e32 v20, 4, v58
	v_mul_hi_u32 v20, v20, s2
	v_mul_f64 v[50:51], v[34:35], v[14:15]
	v_mul_f64 v[80:81], v[48:49], v[14:15]
	;; [unrolled: 1-line block ×3, first 2 shown]
	v_mul_lo_u32 v20, v20, s4
	v_mul_f64 v[70:71], v[18:19], v[70:71]
	v_fmac_f64_e32 v[80:81], v[34:35], v[12:13]
	v_fma_f64 v[18:19], v[18:19], v[68:69], -v[14:15]
	v_sub_u32_e32 v59, v58, v20
	v_fma_f64 v[48:49], v[48:49], v[12:13], -v[50:51]
	v_fmac_f64_e32 v[70:71], v[6:7], v[68:69]
	v_fma_f64 v[6:7], v[40:41], 2.0, -v[38:39]
	v_add_f64 v[12:13], v[30:31], -v[80:81]
	v_add_f64 v[18:19], v[60:61], -v[18:19]
	v_add_f64 v[40:41], v[22:23], -v[74:75]
	v_mad_u64_u32 v[20:21], s[0:1], s16, v59, 0
	v_add_f64 v[14:15], v[54:55], -v[48:49]
	v_fma_f64 v[48:49], v[30:31], 2.0, -v[12:13]
	v_fma_f64 v[30:31], v[60:61], 2.0, -v[18:19]
	v_fma_f64 v[60:61], v[22:23], 2.0, -v[40:41]
	v_mov_b32_e32 v22, v21
	v_mad_u64_u32 v[22:23], s[0:1], s17, v59, v[22:23]
	v_mov_b32_e32 v21, v22
	v_lshl_add_u64 v[22:23], v[66:67], 4, s[6:7]
	v_lshl_add_u64 v[22:23], v[56:57], 4, v[22:23]
	;; [unrolled: 1-line block ×3, first 2 shown]
	global_store_dwordx4 v[20:21], v[4:7], off
	s_waitcnt vmcnt(1)
	v_mul_f64 v[94:95], v[0:1], v[78:79]
	v_mul_f64 v[78:79], v[44:45], v[78:79]
	v_add_u32_e32 v7, 0x70, v59
	v_mad_u64_u32 v[4:5], s[0:1], s16, v7, 0
	v_mov_b32_e32 v6, v5
	v_mad_u64_u32 v[6:7], s[0:1], s17, v7, v[6:7]
	v_mov_b32_e32 v5, v6
	v_lshl_add_u64 v[4:5], v[4:5], 4, v[22:23]
	global_store_dwordx4 v[4:5], v[36:39], off
	v_add_u32_e32 v4, 16, v58
	v_lshrrev_b32_e32 v5, 4, v4
	v_mul_hi_u32 v5, v5, s2
	v_mul_lo_u32 v6, v5, s4
	v_sub_u32_e32 v4, v4, v6
	v_mad_u64_u32 v[4:5], s[0:1], v5, s5, v[4:5]
	v_mad_u64_u32 v[6:7], s[0:1], s16, v4, 0
	v_mov_b32_e32 v20, v7
	v_mad_u64_u32 v[20:21], s[0:1], s17, v4, v[20:21]
	v_mov_b32_e32 v7, v20
	v_fmac_f64_e32 v[78:79], v[0:1], v[76:77]
	v_fma_f64 v[0:1], v[32:33], 2.0, -v[8:9]
	v_lshl_add_u64 v[6:7], v[6:7], 4, v[22:23]
	global_store_dwordx4 v[6:7], v[0:3], off
	v_fma_f64 v[44:45], v[44:45], v[76:77], -v[94:95]
	v_add_f64 v[32:33], v[26:27], -v[64:65]
	v_add_u32_e32 v3, 0x70, v4
	v_mad_u64_u32 v[0:1], s[0:1], s16, v3, 0
	v_mov_b32_e32 v2, v1
	v_mad_u64_u32 v[2:3], s[0:1], s17, v3, v[2:3]
	v_mov_b32_e32 v1, v2
	v_lshl_add_u64 v[0:1], v[0:1], 4, v[22:23]
	global_store_dwordx4 v[0:1], v[8:11], off
	v_add_u32_e32 v0, 32, v58
	v_lshrrev_b32_e32 v1, 4, v0
	v_mul_hi_u32 v1, v1, s2
	v_mul_lo_u32 v2, v1, s4
	v_sub_u32_e32 v0, v0, v2
	v_mad_u64_u32 v[0:1], s[0:1], v1, s5, v[0:1]
	v_mad_u64_u32 v[2:3], s[0:1], s16, v0, 0
	v_mov_b32_e32 v4, v3
	v_mad_u64_u32 v[4:5], s[0:1], s17, v0, v[4:5]
	v_add_f64 v[46:47], v[88:89], -v[44:45]
	v_add_f64 v[44:45], v[24:25], -v[78:79]
	v_mov_b32_e32 v3, v4
	v_fma_f64 v[52:53], v[26:27], 2.0, -v[32:33]
	v_fma_f64 v[26:27], v[88:89], 2.0, -v[46:47]
	;; [unrolled: 1-line block ×3, first 2 shown]
	v_lshl_add_u64 v[2:3], v[2:3], 4, v[22:23]
	global_store_dwordx4 v[2:3], v[24:27], off
	v_add_u32_e32 v3, 0x70, v0
	v_mad_u64_u32 v[0:1], s[0:1], s16, v3, 0
	v_mov_b32_e32 v2, v1
	v_mad_u64_u32 v[2:3], s[0:1], s17, v3, v[2:3]
	v_mov_b32_e32 v1, v2
	v_lshl_add_u64 v[0:1], v[0:1], 4, v[22:23]
	global_store_dwordx4 v[0:1], v[44:47], off
	v_add_u32_e32 v0, 48, v58
	v_lshrrev_b32_e32 v1, 4, v0
	v_mul_hi_u32 v1, v1, s2
	v_mul_lo_u32 v2, v1, s4
	v_sub_u32_e32 v0, v0, v2
	v_mad_u64_u32 v[0:1], s[0:1], v1, s5, v[0:1]
	v_mad_u64_u32 v[2:3], s[0:1], s16, v0, 0
	v_mov_b32_e32 v4, v3
	v_mad_u64_u32 v[4:5], s[0:1], s17, v0, v[4:5]
	v_mov_b32_e32 v3, v4
	v_fma_f64 v[34:35], v[16:17], v[62:63], -v[90:91]
	v_fma_f64 v[62:63], v[86:87], 2.0, -v[42:43]
	v_lshl_add_u64 v[2:3], v[2:3], 4, v[22:23]
	global_store_dwordx4 v[2:3], v[60:63], off
	v_add_u32_e32 v3, 0x70, v0
	v_mad_u64_u32 v[0:1], s[0:1], s16, v3, 0
	v_mov_b32_e32 v2, v1
	v_mad_u64_u32 v[2:3], s[0:1], s17, v3, v[2:3]
	v_mov_b32_e32 v1, v2
	v_lshl_add_u64 v[0:1], v[0:1], 4, v[22:23]
	global_store_dwordx4 v[0:1], v[40:43], off
	v_add_u32_e32 v0, 64, v58
	v_lshrrev_b32_e32 v1, 4, v0
	v_mul_hi_u32 v1, v1, s2
	v_mul_lo_u32 v2, v1, s4
	v_sub_u32_e32 v0, v0, v2
	v_mad_u64_u32 v[0:1], s[0:1], v1, s5, v[0:1]
	v_mad_u64_u32 v[2:3], s[0:1], s16, v0, 0
	v_mov_b32_e32 v4, v3
	v_mad_u64_u32 v[4:5], s[0:1], s17, v0, v[4:5]
	v_add_f64 v[34:35], v[84:85], -v[34:35]
	v_mov_b32_e32 v3, v4
	v_fma_f64 v[50:51], v[54:55], 2.0, -v[14:15]
	v_fma_f64 v[54:55], v[84:85], 2.0, -v[34:35]
	v_lshl_add_u64 v[2:3], v[2:3], 4, v[22:23]
	global_store_dwordx4 v[2:3], v[52:55], off
	v_add_u32_e32 v3, 0x70, v0
	v_mad_u64_u32 v[0:1], s[0:1], s16, v3, 0
	v_mov_b32_e32 v2, v1
	v_mad_u64_u32 v[2:3], s[0:1], s17, v3, v[2:3]
	v_mov_b32_e32 v1, v2
	v_lshl_add_u64 v[0:1], v[0:1], 4, v[22:23]
	global_store_dwordx4 v[0:1], v[32:35], off
	v_add_u32_e32 v0, 0x50, v58
	v_lshrrev_b32_e32 v1, 4, v0
	v_mul_hi_u32 v1, v1, s2
	v_mul_lo_u32 v2, v1, s4
	v_sub_u32_e32 v0, v0, v2
	v_mad_u64_u32 v[0:1], s[0:1], v1, s5, v[0:1]
	v_mad_u64_u32 v[2:3], s[0:1], s16, v0, 0
	v_mov_b32_e32 v4, v3
	v_mad_u64_u32 v[4:5], s[0:1], s17, v0, v[4:5]
	v_add_f64 v[16:17], v[28:29], -v[70:71]
	v_mov_b32_e32 v3, v4
	v_fma_f64 v[28:29], v[28:29], 2.0, -v[16:17]
	v_lshl_add_u64 v[2:3], v[2:3], 4, v[22:23]
	global_store_dwordx4 v[2:3], v[28:31], off
	v_add_u32_e32 v3, 0x70, v0
	v_mad_u64_u32 v[0:1], s[0:1], s16, v3, 0
	v_mov_b32_e32 v2, v1
	v_mad_u64_u32 v[2:3], s[0:1], s17, v3, v[2:3]
	v_mov_b32_e32 v1, v2
	v_lshl_add_u64 v[0:1], v[0:1], 4, v[22:23]
	global_store_dwordx4 v[0:1], v[16:19], off
	v_add_u32_e32 v0, 0x60, v58
	v_lshrrev_b32_e32 v1, 4, v0
	v_mul_hi_u32 v1, v1, s2
	v_mul_lo_u32 v2, v1, s4
	v_sub_u32_e32 v0, v0, v2
	v_mad_u64_u32 v[0:1], s[0:1], v1, s5, v[0:1]
	v_mad_u64_u32 v[2:3], s[0:1], s16, v0, 0
	v_mov_b32_e32 v4, v3
	v_mad_u64_u32 v[4:5], s[0:1], s17, v0, v[4:5]
	v_mov_b32_e32 v3, v4
	v_lshl_add_u64 v[2:3], v[2:3], 4, v[22:23]
	global_store_dwordx4 v[2:3], v[48:51], off
	v_add_u32_e32 v3, 0x70, v0
	v_mad_u64_u32 v[0:1], s[0:1], s16, v3, 0
	v_mov_b32_e32 v2, v1
	v_mad_u64_u32 v[2:3], s[0:1], s17, v3, v[2:3]
	v_mov_b32_e32 v1, v2
	v_lshl_add_u64 v[0:1], v[0:1], 4, v[22:23]
	global_store_dwordx4 v[0:1], v[12:15], off
.LBB0_15:
	s_endpgm
	.section	.rodata,"a",@progbits
	.p2align	6, 0x0
	.amdhsa_kernel fft_rtc_back_len224_factors_7_2_2_2_2_2_wgs_64_tpt_16_halfLds_dp_op_CI_CI_sbrr_dirReg
		.amdhsa_group_segment_fixed_size 0
		.amdhsa_private_segment_fixed_size 0
		.amdhsa_kernarg_size 104
		.amdhsa_user_sgpr_count 2
		.amdhsa_user_sgpr_dispatch_ptr 0
		.amdhsa_user_sgpr_queue_ptr 0
		.amdhsa_user_sgpr_kernarg_segment_ptr 1
		.amdhsa_user_sgpr_dispatch_id 0
		.amdhsa_user_sgpr_kernarg_preload_length 0
		.amdhsa_user_sgpr_kernarg_preload_offset 0
		.amdhsa_user_sgpr_private_segment_size 0
		.amdhsa_uses_dynamic_stack 0
		.amdhsa_enable_private_segment 0
		.amdhsa_system_sgpr_workgroup_id_x 1
		.amdhsa_system_sgpr_workgroup_id_y 0
		.amdhsa_system_sgpr_workgroup_id_z 0
		.amdhsa_system_sgpr_workgroup_info 0
		.amdhsa_system_vgpr_workitem_id 0
		.amdhsa_next_free_vgpr 107
		.amdhsa_next_free_sgpr 32
		.amdhsa_accum_offset 108
		.amdhsa_reserve_vcc 1
		.amdhsa_float_round_mode_32 0
		.amdhsa_float_round_mode_16_64 0
		.amdhsa_float_denorm_mode_32 3
		.amdhsa_float_denorm_mode_16_64 3
		.amdhsa_dx10_clamp 1
		.amdhsa_ieee_mode 1
		.amdhsa_fp16_overflow 0
		.amdhsa_tg_split 0
		.amdhsa_exception_fp_ieee_invalid_op 0
		.amdhsa_exception_fp_denorm_src 0
		.amdhsa_exception_fp_ieee_div_zero 0
		.amdhsa_exception_fp_ieee_overflow 0
		.amdhsa_exception_fp_ieee_underflow 0
		.amdhsa_exception_fp_ieee_inexact 0
		.amdhsa_exception_int_div_zero 0
	.end_amdhsa_kernel
	.text
.Lfunc_end0:
	.size	fft_rtc_back_len224_factors_7_2_2_2_2_2_wgs_64_tpt_16_halfLds_dp_op_CI_CI_sbrr_dirReg, .Lfunc_end0-fft_rtc_back_len224_factors_7_2_2_2_2_2_wgs_64_tpt_16_halfLds_dp_op_CI_CI_sbrr_dirReg
                                        ; -- End function
	.section	.AMDGPU.csdata,"",@progbits
; Kernel info:
; codeLenInByte = 9996
; NumSgprs: 38
; NumVgprs: 107
; NumAgprs: 0
; TotalNumVgprs: 107
; ScratchSize: 0
; MemoryBound: 1
; FloatMode: 240
; IeeeMode: 1
; LDSByteSize: 0 bytes/workgroup (compile time only)
; SGPRBlocks: 4
; VGPRBlocks: 13
; NumSGPRsForWavesPerEU: 38
; NumVGPRsForWavesPerEU: 107
; AccumOffset: 108
; Occupancy: 4
; WaveLimiterHint : 1
; COMPUTE_PGM_RSRC2:SCRATCH_EN: 0
; COMPUTE_PGM_RSRC2:USER_SGPR: 2
; COMPUTE_PGM_RSRC2:TRAP_HANDLER: 0
; COMPUTE_PGM_RSRC2:TGID_X_EN: 1
; COMPUTE_PGM_RSRC2:TGID_Y_EN: 0
; COMPUTE_PGM_RSRC2:TGID_Z_EN: 0
; COMPUTE_PGM_RSRC2:TIDIG_COMP_CNT: 0
; COMPUTE_PGM_RSRC3_GFX90A:ACCUM_OFFSET: 26
; COMPUTE_PGM_RSRC3_GFX90A:TG_SPLIT: 0
	.text
	.p2alignl 6, 3212836864
	.fill 256, 4, 3212836864
	.type	__hip_cuid_d0aa2c830c0b50ff,@object ; @__hip_cuid_d0aa2c830c0b50ff
	.section	.bss,"aw",@nobits
	.globl	__hip_cuid_d0aa2c830c0b50ff
__hip_cuid_d0aa2c830c0b50ff:
	.byte	0                               ; 0x0
	.size	__hip_cuid_d0aa2c830c0b50ff, 1

	.ident	"AMD clang version 19.0.0git (https://github.com/RadeonOpenCompute/llvm-project roc-6.4.0 25133 c7fe45cf4b819c5991fe208aaa96edf142730f1d)"
	.section	".note.GNU-stack","",@progbits
	.addrsig
	.addrsig_sym __hip_cuid_d0aa2c830c0b50ff
	.amdgpu_metadata
---
amdhsa.kernels:
  - .agpr_count:     0
    .args:
      - .actual_access:  read_only
        .address_space:  global
        .offset:         0
        .size:           8
        .value_kind:     global_buffer
      - .offset:         8
        .size:           8
        .value_kind:     by_value
      - .actual_access:  read_only
        .address_space:  global
        .offset:         16
        .size:           8
        .value_kind:     global_buffer
      - .actual_access:  read_only
        .address_space:  global
        .offset:         24
        .size:           8
        .value_kind:     global_buffer
      - .actual_access:  read_only
        .address_space:  global
        .offset:         32
        .size:           8
        .value_kind:     global_buffer
      - .offset:         40
        .size:           8
        .value_kind:     by_value
      - .actual_access:  read_only
        .address_space:  global
        .offset:         48
        .size:           8
        .value_kind:     global_buffer
      - .actual_access:  read_only
        .address_space:  global
        .offset:         56
        .size:           8
        .value_kind:     global_buffer
      - .offset:         64
        .size:           4
        .value_kind:     by_value
      - .actual_access:  read_only
        .address_space:  global
        .offset:         72
        .size:           8
        .value_kind:     global_buffer
      - .actual_access:  read_only
        .address_space:  global
        .offset:         80
        .size:           8
        .value_kind:     global_buffer
      - .actual_access:  read_only
        .address_space:  global
        .offset:         88
        .size:           8
        .value_kind:     global_buffer
      - .actual_access:  write_only
        .address_space:  global
        .offset:         96
        .size:           8
        .value_kind:     global_buffer
    .group_segment_fixed_size: 0
    .kernarg_segment_align: 8
    .kernarg_segment_size: 104
    .language:       OpenCL C
    .language_version:
      - 2
      - 0
    .max_flat_workgroup_size: 64
    .name:           fft_rtc_back_len224_factors_7_2_2_2_2_2_wgs_64_tpt_16_halfLds_dp_op_CI_CI_sbrr_dirReg
    .private_segment_fixed_size: 0
    .sgpr_count:     38
    .sgpr_spill_count: 0
    .symbol:         fft_rtc_back_len224_factors_7_2_2_2_2_2_wgs_64_tpt_16_halfLds_dp_op_CI_CI_sbrr_dirReg.kd
    .uniform_work_group_size: 1
    .uses_dynamic_stack: false
    .vgpr_count:     107
    .vgpr_spill_count: 0
    .wavefront_size: 64
amdhsa.target:   amdgcn-amd-amdhsa--gfx950
amdhsa.version:
  - 1
  - 2
...

	.end_amdgpu_metadata
